;; amdgpu-corpus repo=ROCm/rocFFT kind=compiled arch=gfx1100 opt=O3
	.text
	.amdgcn_target "amdgcn-amd-amdhsa--gfx1100"
	.amdhsa_code_object_version 6
	.protected	bluestein_single_back_len1764_dim1_dp_op_CI_CI ; -- Begin function bluestein_single_back_len1764_dim1_dp_op_CI_CI
	.globl	bluestein_single_back_len1764_dim1_dp_op_CI_CI
	.p2align	8
	.type	bluestein_single_back_len1764_dim1_dp_op_CI_CI,@function
bluestein_single_back_len1764_dim1_dp_op_CI_CI: ; @bluestein_single_back_len1764_dim1_dp_op_CI_CI
; %bb.0:
	s_load_b128 s[16:19], s[0:1], 0x28
	v_mul_u32_u24_e32 v1, 0x209, v0
	s_mov_b32 s2, exec_lo
	v_mov_b32_e32 v23, 0
	s_delay_alu instid0(VALU_DEP_2) | instskip(NEXT) | instid1(VALU_DEP_1)
	v_lshrrev_b32_e32 v1, 16, v1
	v_add_nc_u32_e32 v22, s15, v1
	s_waitcnt lgkmcnt(0)
	s_delay_alu instid0(VALU_DEP_1)
	v_cmpx_gt_u64_e64 s[16:17], v[22:23]
	s_cbranch_execz .LBB0_18
; %bb.1:
	s_clause 0x1
	s_load_b128 s[4:7], s[0:1], 0x18
	s_load_b128 s[8:11], s[0:1], 0x0
	v_mul_lo_u16 v1, 0x7e, v1
	s_delay_alu instid0(VALU_DEP_1)
	v_sub_nc_u16 v3, v0, v1
	s_waitcnt lgkmcnt(0)
	s_load_b128 s[12:15], s[4:5], 0x0
	s_waitcnt lgkmcnt(0)
	v_mad_u64_u32 v[8:9], null, s14, v22, 0
	v_and_b32_e32 v17, 0xffff, v3
	s_mul_hi_u32 s3, s12, 0x3720
	s_mul_i32 s4, s12, 0x3720
	s_mul_i32 s5, s13, 0xffffd0c0
	;; [unrolled: 1-line block ×3, first 2 shown]
	s_delay_alu instid0(VALU_DEP_2) | instskip(SKIP_1) | instid1(VALU_DEP_1)
	v_mov_b32_e32 v2, v9
	v_mad_u64_u32 v[12:13], null, s12, v17, 0
	v_dual_mov_b32 v9, v13 :: v_dual_lshlrev_b32 v16, 4, v17
	s_delay_alu instid0(VALU_DEP_1) | instskip(NEXT) | instid1(VALU_DEP_1)
	v_add_co_u32 v14, s2, s8, v16
	v_add_co_ci_u32_e64 v15, null, s9, 0, s2
	v_mov_b32_e32 v13, v22
	s_delay_alu instid0(VALU_DEP_3) | instskip(NEXT) | instid1(VALU_DEP_3)
	v_add_co_u32 v0, vcc_lo, 0x3000, v14
	v_add_co_ci_u32_e32 v1, vcc_lo, 0, v15, vcc_lo
	v_add_co_u32 v4, vcc_lo, 0x4000, v14
	v_add_co_ci_u32_e32 v5, vcc_lo, 0, v15, vcc_lo
	;; [unrolled: 2-line block ×5, first 2 shown]
	s_clause 0x2
	global_load_b128 v[44:47], v16, s[8:9]
	global_load_b128 v[48:51], v16, s[8:9] offset:2016
	global_load_b128 v[52:55], v16, s[8:9] offset:4032
	v_add_co_u32 v20, vcc_lo, 0x6000, v14
	scratch_store_b64 off, v[13:14], off offset:48 ; 8-byte Folded Spill
	v_mad_u64_u32 v[13:14], null, s15, v22, v[2:3]
	s_clause 0x1
	global_load_b128 v[148:151], v[0:1], off offset:1824
	global_load_b128 v[144:147], v[0:1], off offset:3840
	v_mad_u64_u32 v[0:1], null, s13, v17, v[9:10]
	v_add_co_ci_u32_e32 v21, vcc_lo, 0, v15, vcc_lo
	s_clause 0x3
	global_load_b128 v[136:139], v[4:5], off offset:1760
	global_load_b128 v[128:131], v[4:5], off offset:3776
	;; [unrolled: 1-line block ×4, first 2 shown]
	v_mov_b32_e32 v9, v13
	s_mul_i32 s2, s13, 0x3720
	s_mul_hi_u32 s13, s12, 0xffffd0c0
	v_mov_b32_e32 v13, v0
	s_add_i32 s3, s3, s2
	v_lshlrev_b64 v[0:1], 4, v[8:9]
	s_sub_i32 s2, s13, s12
	global_load_b128 v[152:155], v[18:19], off offset:1888
	v_lshlrev_b64 v[4:5], 4, v[12:13]
	s_add_i32 s2, s2, s5
	s_clause 0x1
	global_load_b128 v[160:163], v[10:11], off offset:1696
	global_load_b128 v[156:159], v[10:11], off offset:3712
	v_add_co_u32 v0, vcc_lo, s18, v0
	v_add_co_ci_u32_e32 v1, vcc_lo, s19, v1, vcc_lo
	s_delay_alu instid0(VALU_DEP_2) | instskip(NEXT) | instid1(VALU_DEP_2)
	v_add_co_u32 v0, vcc_lo, v0, v4
	v_add_co_ci_u32_e32 v1, vcc_lo, v1, v5, vcc_lo
	s_delay_alu instid0(VALU_DEP_2) | instskip(NEXT) | instid1(VALU_DEP_2)
	v_add_co_u32 v8, vcc_lo, v0, s4
	v_add_co_ci_u32_e32 v9, vcc_lo, s3, v1, vcc_lo
	s_delay_alu instid0(VALU_DEP_2) | instskip(NEXT) | instid1(VALU_DEP_2)
	v_add_co_u32 v12, vcc_lo, v8, s14
	v_add_co_ci_u32_e32 v13, vcc_lo, s2, v9, vcc_lo
	s_clause 0x1
	global_load_b128 v[4:7], v[0:1], off
	global_load_b128 v[8:11], v[8:9], off
	v_add_co_u32 v22, vcc_lo, v12, s4
	v_add_co_ci_u32_e32 v23, vcc_lo, s3, v13, vcc_lo
	s_clause 0x1
	global_load_b128 v[12:15], v[12:13], off
	global_load_b128 v[56:59], v[22:23], off
	v_add_co_u32 v24, vcc_lo, v22, s14
	v_add_co_ci_u32_e32 v25, vcc_lo, s2, v23, vcc_lo
	s_delay_alu instid0(VALU_DEP_2) | instskip(NEXT) | instid1(VALU_DEP_2)
	v_add_co_u32 v0, vcc_lo, v24, s4
	v_add_co_ci_u32_e32 v1, vcc_lo, s3, v25, vcc_lo
	global_load_b128 v[60:63], v[24:25], off
	v_add_co_u32 v22, vcc_lo, v0, s14
	v_add_co_ci_u32_e32 v23, vcc_lo, s2, v1, vcc_lo
	global_load_b128 v[64:67], v[0:1], off
	;; [unrolled: 3-line block ×7, first 2 shown]
	v_add_co_u32 v22, vcc_lo, v0, s14
	v_add_co_ci_u32_e32 v23, vcc_lo, s2, v1, vcc_lo
	s_delay_alu instid0(VALU_DEP_2) | instskip(NEXT) | instid1(VALU_DEP_2)
	v_add_co_u32 v24, vcc_lo, v22, s4
	v_add_co_ci_u32_e32 v25, vcc_lo, s3, v23, vcc_lo
	global_load_b128 v[88:91], v[0:1], off
	global_load_b128 v[164:167], v[18:19], off offset:3904
	global_load_b128 v[92:95], v[22:23], off
	global_load_b128 v[168:171], v[20:21], off offset:1632
	global_load_b128 v[96:99], v[24:25], off
	s_load_b128 s[4:7], s[6:7], 0x0
	v_cmp_gt_u16_e32 vcc_lo, 0x54, v3
	s_waitcnt vmcnt(27)
	scratch_store_b128 off, v[44:47], off   ; 16-byte Folded Spill
	s_waitcnt vmcnt(26)
	scratch_store_b128 off, v[48:51], off offset:16 ; 16-byte Folded Spill
	s_waitcnt vmcnt(25)
	scratch_store_b128 off, v[52:55], off offset:32 ; 16-byte Folded Spill
	;; [unrolled: 2-line block ×11, first 2 shown]
	s_waitcnt vmcnt(15)
	v_mul_f64 v[0:1], v[6:7], v[46:47]
	v_mul_f64 v[18:19], v[4:5], v[46:47]
	s_waitcnt vmcnt(14)
	v_mul_f64 v[20:21], v[10:11], v[150:151]
	v_mul_f64 v[22:23], v[8:9], v[150:151]
	;; [unrolled: 3-line block ×9, first 2 shown]
	v_fma_f64 v[4:5], v[4:5], v[44:45], v[0:1]
	v_fma_f64 v[6:7], v[6:7], v[44:45], -v[18:19]
	v_fma_f64 v[8:9], v[8:9], v[148:149], v[20:21]
	s_waitcnt vmcnt(6)
	v_mul_f64 v[108:109], v[82:83], v[162:163]
	v_mul_f64 v[110:111], v[80:81], v[162:163]
	v_fma_f64 v[12:13], v[12:13], v[48:49], v[24:25]
	v_fma_f64 v[14:15], v[14:15], v[48:49], -v[26:27]
	v_fma_f64 v[56:57], v[56:57], v[144:145], v[28:29]
	s_waitcnt vmcnt(5)
	v_mul_f64 v[112:113], v[86:87], v[154:155]
	v_mul_f64 v[114:115], v[84:85], v[154:155]
	v_fma_f64 v[58:59], v[58:59], v[144:145], -v[30:31]
	v_fma_f64 v[10:11], v[10:11], v[148:149], -v[22:23]
	v_add_co_u32 v18, s2, 0x7e, v17
	s_waitcnt vmcnt(4)
	v_mul_f64 v[116:117], v[90:91], v[158:159]
	v_mul_f64 v[118:119], v[88:89], v[158:159]
	s_waitcnt vmcnt(2)
	v_mul_f64 v[120:121], v[94:95], v[166:167]
	v_mul_f64 v[122:123], v[92:93], v[166:167]
	;; [unrolled: 3-line block ×3, first 2 shown]
	v_fma_f64 v[60:61], v[60:61], v[52:53], v[32:33]
	v_fma_f64 v[64:65], v[64:65], v[136:137], v[36:37]
	v_fma_f64 v[66:67], v[66:67], v[136:137], -v[38:39]
	v_fma_f64 v[62:63], v[62:63], v[52:53], -v[34:35]
	s_clause 0x1
	scratch_store_b128 off, v[164:167], off offset:200
	scratch_store_b128 off, v[168:171], off offset:216
	v_fma_f64 v[68:69], v[68:69], v[140:141], v[40:41]
	v_fma_f64 v[70:71], v[70:71], v[140:141], -v[42:43]
	v_add_co_ci_u32_e64 v0, null, 0, 0, s2
	v_add_co_u32 v2, s2, 0xfc, v17
	v_fma_f64 v[72:73], v[72:73], v[128:129], v[100:101]
	v_fma_f64 v[74:75], v[74:75], v[128:129], -v[102:103]
	v_lshlrev_b32_e32 v43, 1, v17
	v_add_co_ci_u32_e64 v0, null, 0, 0, s2
	v_fma_f64 v[76:77], v[76:77], v[132:133], v[104:105]
	v_fma_f64 v[78:79], v[78:79], v[132:133], -v[106:107]
	v_add_co_u32 v1, s2, 0x17a, v17
	v_fma_f64 v[80:81], v[80:81], v[160:161], v[108:109]
	v_fma_f64 v[82:83], v[82:83], v[160:161], -v[110:111]
	v_add_co_ci_u32_e64 v0, null, 0, 0, s2
	v_add_co_u32 v0, null, 0x1f8, v17
	v_fma_f64 v[84:85], v[84:85], v[152:153], v[112:113]
	v_fma_f64 v[86:87], v[86:87], v[152:153], -v[114:115]
	v_and_b32_e32 v44, 1, v17
	v_add_nc_u32_e32 v45, 0x4ec, v43
	v_add_nc_u32_e32 v46, 0x5e8, v43
	v_fma_f64 v[88:89], v[88:89], v[156:157], v[116:117]
	v_fma_f64 v[90:91], v[90:91], v[156:157], -v[118:119]
	v_fma_f64 v[92:93], v[92:93], v[164:165], v[120:121]
	v_fma_f64 v[94:95], v[94:95], v[164:165], -v[122:123]
	v_fma_f64 v[96:97], v[96:97], v[168:169], v[124:125]
	v_fma_f64 v[98:99], v[98:99], v[168:169], -v[126:127]
	v_lshlrev_b32_e32 v21, 5, v17
	v_lshlrev_b32_e32 v27, 5, v18
	;; [unrolled: 1-line block ×9, first 2 shown]
	ds_store_b128 v16, v[4:7]
	ds_store_b128 v16, v[12:15] offset:2016
	ds_store_b128 v16, v[56:59] offset:16128
	;; [unrolled: 1-line block ×13, first 2 shown]
	s_waitcnt lgkmcnt(0)
	s_waitcnt_vscnt null, 0x0
	s_barrier
	buffer_gl0_inv
	ds_load_b128 v[4:7], v16 offset:14112
	ds_load_b128 v[8:11], v16
	ds_load_b128 v[12:15], v16 offset:2016
	ds_load_b128 v[56:59], v16 offset:16128
	;; [unrolled: 1-line block ×12, first 2 shown]
	s_waitcnt lgkmcnt(0)
	s_barrier
	buffer_gl0_inv
	s_load_b64 s[2:3], s[0:1], 0x38
                                        ; implicit-def: $vgpr136_vgpr137
	v_add_f64 v[4:5], v[8:9], -v[4:5]
	v_add_f64 v[6:7], v[10:11], -v[6:7]
	;; [unrolled: 1-line block ×14, first 2 shown]
	v_fma_f64 v[8:9], v[8:9], 2.0, -v[4:5]
	v_fma_f64 v[10:11], v[10:11], 2.0, -v[6:7]
	v_fma_f64 v[12:13], v[12:13], 2.0, -v[56:57]
	v_fma_f64 v[14:15], v[14:15], 2.0, -v[58:59]
	v_fma_f64 v[64:65], v[64:65], 2.0, -v[60:61]
	v_fma_f64 v[66:67], v[66:67], 2.0, -v[62:63]
	v_fma_f64 v[68:69], v[68:69], 2.0, -v[72:73]
	v_fma_f64 v[70:71], v[70:71], 2.0, -v[74:75]
	v_fma_f64 v[80:81], v[80:81], 2.0, -v[76:77]
	v_fma_f64 v[82:83], v[82:83], 2.0, -v[78:79]
	v_fma_f64 v[84:85], v[84:85], 2.0, -v[88:89]
	v_fma_f64 v[86:87], v[86:87], 2.0, -v[90:91]
	v_fma_f64 v[92:93], v[92:93], 2.0, -v[96:97]
	v_fma_f64 v[94:95], v[94:95], 2.0, -v[98:99]
	ds_store_b128 v21, v[8:11]
	ds_store_b128 v21, v[4:7] offset:16
	ds_store_b128 v27, v[12:15]
	scratch_store_b32 off, v27, off offset:328 ; 4-byte Folded Spill
	ds_store_b128 v27, v[56:59] offset:16
	ds_store_b128 v26, v[64:67]
	scratch_store_b32 off, v26, off offset:324 ; 4-byte Folded Spill
	ds_store_b128 v26, v[60:63] offset:16
	ds_store_b128 v25, v[68:71]
	scratch_store_b32 off, v25, off offset:320 ; 4-byte Folded Spill
	ds_store_b128 v25, v[72:75] offset:16
	ds_store_b128 v24, v[80:83]
	scratch_store_b32 off, v24, off offset:316 ; 4-byte Folded Spill
	ds_store_b128 v24, v[76:79] offset:16
	ds_store_b128 v19, v[84:87] offset:20160
	scratch_store_b32 off, v23, off offset:312 ; 4-byte Folded Spill
	ds_store_b128 v23, v[88:91] offset:16
	ds_store_b128 v19, v[92:95] offset:24192
	scratch_store_b32 off, v22, off offset:304 ; 4-byte Folded Spill
	ds_store_b128 v22, v[96:99] offset:16
	s_waitcnt lgkmcnt(0)
	s_waitcnt_vscnt null, 0x0
	s_barrier
	buffer_gl0_inv
	global_load_b128 v[56:59], v20, s[10:11]
	ds_load_b128 v[4:7], v16 offset:14112
	ds_load_b128 v[8:11], v16 offset:16128
	;; [unrolled: 1-line block ×8, first 2 shown]
	s_waitcnt vmcnt(0) lgkmcnt(7)
	v_mul_f64 v[19:20], v[6:7], v[58:59]
	v_mul_f64 v[21:22], v[4:5], v[58:59]
	s_waitcnt lgkmcnt(6)
	v_mul_f64 v[23:24], v[10:11], v[58:59]
	v_mul_f64 v[25:26], v[8:9], v[58:59]
	s_waitcnt lgkmcnt(5)
	;; [unrolled: 3-line block ×6, first 2 shown]
	v_mul_f64 v[80:81], v[74:75], v[58:59]
	v_mul_f64 v[82:83], v[72:73], v[58:59]
	v_fma_f64 v[19:20], v[4:5], v[56:57], -v[19:20]
	v_fma_f64 v[21:22], v[6:7], v[56:57], v[21:22]
	v_fma_f64 v[23:24], v[8:9], v[56:57], -v[23:24]
	v_fma_f64 v[25:26], v[10:11], v[56:57], v[25:26]
	;; [unrolled: 2-line block ×7, first 2 shown]
	ds_load_b128 v[4:7], v16
	ds_load_b128 v[8:11], v16 offset:2016
	ds_load_b128 v[12:15], v16 offset:4032
	;; [unrolled: 1-line block ×5, first 2 shown]
	s_waitcnt lgkmcnt(0)
	s_barrier
	buffer_gl0_inv
	v_add_f64 v[72:73], v[4:5], -v[19:20]
	v_add_f64 v[74:75], v[6:7], -v[21:22]
	v_add_f64 v[80:81], v[8:9], -v[23:24]
	v_add_f64 v[82:83], v[10:11], -v[25:26]
	v_add_f64 v[84:85], v[12:13], -v[27:28]
	v_add_f64 v[86:87], v[14:15], -v[29:30]
	v_add_f64 v[88:89], v[60:61], -v[31:32]
	v_add_f64 v[90:91], v[62:63], -v[33:34]
	v_add_f64 v[92:93], v[64:65], -v[35:36]
	v_add_f64 v[94:95], v[66:67], -v[37:38]
	v_add_f64 v[96:97], v[68:69], -v[39:40]
	v_add_f64 v[98:99], v[70:71], -v[41:42]
	v_add_f64 v[100:101], v[76:77], -v[100:101]
	v_add_f64 v[102:103], v[78:79], -v[102:103]
	v_and_or_b32 v19, 0xfc, v43, v44
	v_lshlrev_b32_e32 v20, 1, v18
	v_lshlrev_b32_e32 v21, 1, v2
	;; [unrolled: 1-line block ×5, first 2 shown]
	v_and_or_b32 v19, 0x1fc, v20, v44
	v_and_or_b32 v20, 0x3fc, v21, v44
	;; [unrolled: 1-line block ×6, first 2 shown]
	v_lshlrev_b32_e32 v28, 4, v19
	v_lshlrev_b32_e32 v27, 4, v20
	;; [unrolled: 1-line block ×6, first 2 shown]
	scratch_store_b32 off, v25, off offset:252 ; 4-byte Folded Spill
	v_fma_f64 v[4:5], v[4:5], 2.0, -v[72:73]
	v_fma_f64 v[6:7], v[6:7], 2.0, -v[74:75]
	;; [unrolled: 1-line block ×14, first 2 shown]
	ds_store_b128 v25, v[4:7]
	ds_store_b128 v25, v[72:75] offset:32
	ds_store_b128 v28, v[8:11]
	scratch_store_b32 off, v28, off offset:296 ; 4-byte Folded Spill
	ds_store_b128 v28, v[80:83] offset:32
	ds_store_b128 v27, v[12:15]
	scratch_store_b32 off, v27, off offset:292 ; 4-byte Folded Spill
	;; [unrolled: 3-line block ×6, first 2 shown]
	ds_store_b128 v19, v[100:103] offset:32
	s_waitcnt lgkmcnt(0)
	s_waitcnt_vscnt null, 0x0
	s_barrier
	buffer_gl0_inv
	ds_load_b128 v[92:95], v16
	ds_load_b128 v[72:75], v16 offset:2016
	ds_load_b128 v[120:123], v16 offset:9408
	;; [unrolled: 1-line block ×11, first 2 shown]
	s_and_saveexec_b32 s0, vcc_lo
	s_cbranch_execz .LBB0_3
; %bb.2:
	ds_load_b128 v[68:71], v16 offset:8064
	ds_load_b128 v[100:103], v16 offset:17472
	;; [unrolled: 1-line block ×3, first 2 shown]
.LBB0_3:
	s_or_b32 exec_lo, exec_lo, s0
	v_and_b32_e32 v44, 3, v17
	v_and_b32_e32 v15, 3, v1
	;; [unrolled: 1-line block ×3, first 2 shown]
	s_mov_b32 s0, 0xe8584caa
	s_mov_b32 s1, 0x3febb67a
	v_lshlrev_b32_e32 v3, 5, v44
	v_lshlrev_b32_e32 v4, 5, v15
	s_mov_b32 s13, 0xbfebb67a
	s_mov_b32 s12, s0
	s_clause 0x5
	global_load_b128 v[76:79], v3, s[10:11] offset:32
	global_load_b128 v[64:67], v3, s[10:11] offset:48
	;; [unrolled: 1-line block ×5, first 2 shown]
	global_load_b64 v[37:38], v4, s[10:11] offset:56
	v_lshlrev_b32_e32 v3, 5, v43
	global_load_b64 v[49:50], v3, s[10:11] offset:32
	s_waitcnt vmcnt(6) lgkmcnt(9)
	v_mul_f64 v[7:8], v[120:121], v[78:79]
	s_waitcnt vmcnt(5) lgkmcnt(7)
	v_mul_f64 v[9:10], v[128:129], v[66:67]
	s_waitcnt vmcnt(4)
	v_mul_f64 v[19:20], v[104:105], v[47:48]
	s_waitcnt vmcnt(3) lgkmcnt(6)
	v_mul_f64 v[21:22], v[112:113], v[86:87]
	s_waitcnt lgkmcnt(3)
	v_mul_f64 v[27:28], v[124:125], v[78:79]
	s_waitcnt lgkmcnt(1)
	v_mul_f64 v[29:30], v[132:133], v[66:67]
	v_mul_f64 v[11:12], v[106:107], v[47:48]
	;; [unrolled: 1-line block ×5, first 2 shown]
	s_waitcnt vmcnt(2)
	v_mul_f64 v[35:36], v[108:109], v[80:81]
	v_mul_f64 v[39:40], v[102:103], v[78:79]
	;; [unrolled: 1-line block ×3, first 2 shown]
	s_waitcnt lgkmcnt(0)
	v_mul_f64 v[142:143], v[136:137], v[66:67]
	v_mul_f64 v[31:32], v[110:111], v[80:81]
	;; [unrolled: 1-line block ×4, first 2 shown]
	s_waitcnt vmcnt(1)
	v_mul_f64 v[33:34], v[118:119], v[37:38]
	v_mul_f64 v[41:42], v[138:139], v[66:67]
	s_waitcnt vmcnt(0)
	s_clause 0x1
	scratch_store_b64 off, v[49:50], off offset:260
	scratch_store_b128 off, v[45:48], off offset:232
	v_fma_f64 v[7:8], v[122:123], v[76:77], v[7:8]
	v_fma_f64 v[9:10], v[130:131], v[64:65], v[9:10]
	;; [unrolled: 1-line block ×6, first 2 shown]
	v_fma_f64 v[11:12], v[104:105], v[49:50], -v[11:12]
	v_fma_f64 v[13:14], v[112:113], v[82:83], -v[13:14]
	;; [unrolled: 1-line block ×4, first 2 shown]
	v_fma_f64 v[35:36], v[110:111], v[45:46], v[35:36]
	v_fma_f64 v[39:40], v[100:101], v[76:77], -v[39:40]
	v_fma_f64 v[100:101], v[102:103], v[76:77], v[140:141]
	v_fma_f64 v[102:103], v[138:139], v[64:65], v[142:143]
	v_fma_f64 v[31:32], v[108:109], v[45:46], -v[31:32]
	v_fma_f64 v[3:4], v[120:121], v[76:77], -v[3:4]
	;; [unrolled: 1-line block ×5, first 2 shown]
	v_add_f64 v[106:107], v[7:8], v[9:10]
	v_add_f64 v[126:127], v[7:8], -v[9:10]
	v_add_f64 v[110:111], v[19:20], v[21:22]
	v_add_f64 v[7:8], v[94:95], v[7:8]
	;; [unrolled: 1-line block ×7, first 2 shown]
	v_add_f64 v[23:24], v[23:24], -v[25:26]
	v_add_f64 v[108:109], v[11:12], v[13:14]
	v_add_f64 v[142:143], v[70:71], v[100:101]
	;; [unrolled: 1-line block ×3, first 2 shown]
	v_add_f64 v[144:145], v[100:101], -v[102:103]
	v_add_f64 v[124:125], v[92:93], v[3:4]
	v_add_f64 v[104:105], v[3:4], v[5:6]
	;; [unrolled: 1-line block ×7, first 2 shown]
	v_add_f64 v[19:20], v[19:20], -v[21:22]
	v_add_f64 v[27:28], v[27:28], -v[29:30]
	;; [unrolled: 1-line block ×3, first 2 shown]
	v_fma_f64 v[94:95], v[106:107], -0.5, v[94:95]
	v_add_f64 v[106:107], v[11:12], -v[13:14]
	v_fma_f64 v[74:75], v[110:111], -0.5, v[74:75]
	v_fma_f64 v[110:111], v[114:115], -0.5, v[98:99]
	v_add_f64 v[11:12], v[132:133], v[25:26]
	v_fma_f64 v[72:73], v[108:109], -0.5, v[72:73]
	v_fma_f64 v[108:109], v[112:113], -0.5, v[96:97]
	;; [unrolled: 1-line block ×3, first 2 shown]
	v_add_f64 v[122:123], v[142:143], v[102:103]
	v_fma_f64 v[92:93], v[104:105], -0.5, v[92:93]
	v_add_f64 v[104:105], v[3:4], -v[5:6]
	v_fma_f64 v[146:147], v[120:121], -0.5, v[68:69]
	v_add_f64 v[3:4], v[124:125], v[5:6]
	v_add_f64 v[5:6], v[7:8], v[9:10]
	;; [unrolled: 1-line block ×7, first 2 shown]
	v_lshrrev_b32_e32 v21, 2, v2
	v_lshrrev_b32_e32 v22, 2, v1
	s_delay_alu instid0(VALU_DEP_2) | instskip(NEXT) | instid1(VALU_DEP_2)
	v_mul_u32_u24_e32 v21, 12, v21
	v_mul_u32_u24_e32 v22, 12, v22
	s_delay_alu instid0(VALU_DEP_2) | instskip(NEXT) | instid1(VALU_DEP_2)
	v_or_b32_e32 v21, v21, v44
	v_or_b32_e32 v15, v22, v15
	v_fma_f64 v[98:99], v[106:107], s[12:13], v[74:75]
	v_fma_f64 v[102:103], v[106:107], s[0:1], v[74:75]
	;; [unrolled: 1-line block ×4, first 2 shown]
	v_lshrrev_b32_e32 v23, 2, v0
	scratch_store_b64 off, v[37:38], off offset:272 ; 8-byte Folded Spill
	v_mul_f64 v[37:38], v[116:117], v[37:38]
	v_add_f64 v[116:117], v[31:32], v[33:34]
	v_add_f64 v[31:32], v[31:32], -v[33:34]
	scratch_store_b32 off, v23, off offset:384 ; 4-byte Folded Spill
	v_fma_f64 v[96:97], v[19:20], s[0:1], v[72:73]
	v_fma_f64 v[100:101], v[19:20], s[12:13], v[72:73]
	;; [unrolled: 1-line block ×4, first 2 shown]
	v_lshrrev_b32_e32 v19, 2, v17
	v_fma_f64 v[72:73], v[144:145], s[0:1], v[146:147]
	v_fma_f64 v[140:141], v[144:145], s[12:13], v[146:147]
	v_lshrrev_b32_e32 v20, 2, v18
	v_lshlrev_b32_e32 v15, 4, v15
	v_mul_u32_u24_e32 v19, 12, v19
	s_waitcnt_vscnt null, 0x0
	s_barrier
	v_mul_u32_u24_e32 v20, 12, v20
	buffer_gl0_inv
	v_or_b32_e32 v19, v19, v44
	v_or_b32_e32 v20, v20, v43
	s_delay_alu instid0(VALU_DEP_2) | instskip(SKIP_1) | instid1(VALU_DEP_3)
	v_lshlrev_b32_e32 v22, 4, v19
	v_lshlrev_b32_e32 v19, 4, v21
	;; [unrolled: 1-line block ×3, first 2 shown]
	v_fma_f64 v[37:38], v[118:119], v[84:85], v[37:38]
	v_fma_f64 v[114:115], v[116:117], -0.5, v[88:89]
	v_fma_f64 v[88:89], v[126:127], s[0:1], v[92:93]
	v_fma_f64 v[92:93], v[126:127], s[12:13], v[92:93]
	s_delay_alu instid0(VALU_DEP_4) | instskip(SKIP_2) | instid1(VALU_DEP_3)
	v_add_f64 v[118:119], v[35:36], v[37:38]
	v_add_f64 v[35:36], v[35:36], -v[37:38]
	v_add_f64 v[70:71], v[138:139], v[37:38]
	v_fma_f64 v[118:119], v[118:119], -0.5, v[90:91]
	v_fma_f64 v[90:91], v[104:105], s[12:13], v[94:95]
	v_fma_f64 v[94:95], v[104:105], s[0:1], v[94:95]
	v_fma_f64 v[104:105], v[27:28], s[0:1], v[108:109]
	v_fma_f64 v[108:109], v[27:28], s[12:13], v[108:109]
	v_fma_f64 v[112:113], v[35:36], s[0:1], v[114:115]
	v_fma_f64 v[116:117], v[35:36], s[12:13], v[114:115]
	ds_store_b128 v22, v[3:6]
	ds_store_b128 v22, v[88:91] offset:64
	v_fma_f64 v[114:115], v[31:32], s[12:13], v[118:119]
	v_fma_f64 v[118:119], v[31:32], s[0:1], v[118:119]
	scratch_store_b32 off, v22, off offset:308 ; 4-byte Folded Spill
	ds_store_b128 v22, v[92:95] offset:128
	ds_store_b128 v20, v[7:10]
	ds_store_b128 v20, v[96:99] offset:64
	scratch_store_b32 off, v20, off offset:300 ; 4-byte Folded Spill
	ds_store_b128 v20, v[100:103] offset:128
	ds_store_b128 v19, v[11:14]
	ds_store_b128 v19, v[104:107] offset:64
	;; [unrolled: 4-line block ×3, first 2 shown]
	scratch_store_b32 off, v15, off offset:280 ; 4-byte Folded Spill
	ds_store_b128 v15, v[116:119] offset:128
	s_and_saveexec_b32 s0, vcc_lo
	s_cbranch_execz .LBB0_5
; %bb.4:
	v_lshrrev_b32_e32 v3, 2, v0
	v_and_b32_e32 v4, 3, v17
	s_delay_alu instid0(VALU_DEP_2) | instskip(NEXT) | instid1(VALU_DEP_1)
	v_mul_u32_u24_e32 v3, 12, v3
	v_or_b32_e32 v3, v3, v4
	s_delay_alu instid0(VALU_DEP_1)
	v_lshlrev_b32_e32 v3, 4, v3
	ds_store_b128 v3, v[120:123]
	ds_store_b128 v3, v[72:75] offset:64
	ds_store_b128 v3, v[140:143] offset:128
.LBB0_5:
	s_or_b32 exec_lo, exec_lo, s0
	s_waitcnt lgkmcnt(0)
	s_waitcnt_vscnt null, 0x0
	s_barrier
	buffer_gl0_inv
	ds_load_b128 v[136:139], v16
	ds_load_b128 v[132:135], v16 offset:2016
	ds_load_b128 v[92:95], v16 offset:9408
	;; [unrolled: 1-line block ×11, first 2 shown]
	s_and_saveexec_b32 s0, vcc_lo
	s_cbranch_execz .LBB0_7
; %bb.6:
	ds_load_b128 v[120:123], v16 offset:8064
	ds_load_b128 v[72:75], v16 offset:17472
	;; [unrolled: 1-line block ×3, first 2 shown]
.LBB0_7:
	s_or_b32 exec_lo, exec_lo, s0
	v_and_b32_e32 v19, 0xff, v17
	v_and_b32_e32 v144, 0xff, v18
	s_delay_alu instid0(VALU_DEP_2) | instskip(NEXT) | instid1(VALU_DEP_1)
	v_mul_lo_u16 v3, 0xab, v19
	v_lshrrev_b16 v44, 11, v3
	s_delay_alu instid0(VALU_DEP_1) | instskip(NEXT) | instid1(VALU_DEP_1)
	v_mul_lo_u16 v3, v44, 12
	v_sub_nc_u16 v3, v17, v3
	s_delay_alu instid0(VALU_DEP_1) | instskip(NEXT) | instid1(VALU_DEP_1)
	v_and_b32_e32 v45, 0xff, v3
	v_lshlrev_b32_e32 v5, 5, v45
	global_load_b128 v[88:91], v5, s[10:11] offset:160
	s_waitcnt vmcnt(0) lgkmcnt(9)
	v_mul_f64 v[3:4], v[94:95], v[90:91]
	s_delay_alu instid0(VALU_DEP_1) | instskip(SKIP_1) | instid1(VALU_DEP_1)
	v_fma_f64 v[12:13], v[92:93], v[88:89], -v[3:4]
	v_mul_f64 v[3:4], v[92:93], v[90:91]
	v_fma_f64 v[8:9], v[94:95], v[88:89], v[3:4]
	global_load_b128 v[92:95], v5, s[10:11] offset:176
	s_waitcnt vmcnt(0) lgkmcnt(7)
	v_mul_f64 v[3:4], v[98:99], v[94:95]
	s_delay_alu instid0(VALU_DEP_1) | instskip(SKIP_1) | instid1(VALU_DEP_1)
	v_fma_f64 v[14:15], v[96:97], v[92:93], -v[3:4]
	v_mul_f64 v[3:4], v[96:97], v[94:95]
	v_fma_f64 v[10:11], v[98:99], v[92:93], v[3:4]
	v_mul_lo_u16 v3, 0xab, v144
	s_delay_alu instid0(VALU_DEP_1) | instskip(NEXT) | instid1(VALU_DEP_1)
	v_lshrrev_b16 v46, 11, v3
	v_mul_lo_u16 v3, v46, 12
	s_delay_alu instid0(VALU_DEP_1) | instskip(NEXT) | instid1(VALU_DEP_1)
	v_sub_nc_u16 v3, v18, v3
	v_and_b32_e32 v47, 0xff, v3
	s_delay_alu instid0(VALU_DEP_1) | instskip(SKIP_4) | instid1(VALU_DEP_1)
	v_lshlrev_b32_e32 v5, 5, v47
	global_load_b128 v[96:99], v5, s[10:11] offset:160
	v_add_f64 v[145:146], v[8:9], -v[10:11]
	s_waitcnt vmcnt(0)
	v_mul_f64 v[3:4], v[102:103], v[98:99]
	v_fma_f64 v[20:21], v[100:101], v[96:97], -v[3:4]
	v_mul_f64 v[3:4], v[100:101], v[98:99]
	s_delay_alu instid0(VALU_DEP_1) | instskip(SKIP_3) | instid1(VALU_DEP_1)
	v_fma_f64 v[22:23], v[102:103], v[96:97], v[3:4]
	global_load_b128 v[100:103], v5, s[10:11] offset:176
	s_waitcnt vmcnt(0) lgkmcnt(6)
	v_mul_f64 v[3:4], v[106:107], v[102:103]
	v_fma_f64 v[24:25], v[104:105], v[100:101], -v[3:4]
	v_mul_f64 v[3:4], v[104:105], v[102:103]
	s_delay_alu instid0(VALU_DEP_1) | instskip(SKIP_1) | instid1(VALU_DEP_1)
	v_fma_f64 v[26:27], v[106:107], v[100:101], v[3:4]
	v_and_b32_e32 v3, 0xffff, v2
	v_mul_u32_u24_e32 v3, 0xaaab, v3
	s_delay_alu instid0(VALU_DEP_1) | instskip(NEXT) | instid1(VALU_DEP_1)
	v_lshrrev_b32_e32 v48, 19, v3
	v_mul_lo_u16 v3, v48, 12
	s_delay_alu instid0(VALU_DEP_1) | instskip(NEXT) | instid1(VALU_DEP_1)
	v_sub_nc_u16 v49, v2, v3
	v_lshlrev_b16 v2, 5, v49
	s_delay_alu instid0(VALU_DEP_1) | instskip(NEXT) | instid1(VALU_DEP_1)
	v_and_b32_e32 v2, 0xffff, v2
	v_add_co_u32 v2, s0, s10, v2
	s_delay_alu instid0(VALU_DEP_1) | instskip(SKIP_3) | instid1(VALU_DEP_1)
	v_add_co_ci_u32_e64 v3, null, s11, 0, s0
	global_load_b128 v[104:107], v[2:3], off offset:160
	s_waitcnt vmcnt(0) lgkmcnt(3)
	v_mul_f64 v[4:5], v[110:111], v[106:107]
	v_fma_f64 v[28:29], v[108:109], v[104:105], -v[4:5]
	v_mul_f64 v[4:5], v[108:109], v[106:107]
	s_delay_alu instid0(VALU_DEP_1) | instskip(SKIP_3) | instid1(VALU_DEP_1)
	v_fma_f64 v[30:31], v[110:111], v[104:105], v[4:5]
	global_load_b128 v[108:111], v[2:3], off offset:176
	s_waitcnt vmcnt(0) lgkmcnt(1)
	v_mul_f64 v[2:3], v[114:115], v[110:111]
	v_fma_f64 v[32:33], v[112:113], v[108:109], -v[2:3]
	v_mul_f64 v[2:3], v[112:113], v[110:111]
	s_delay_alu instid0(VALU_DEP_1) | instskip(SKIP_1) | instid1(VALU_DEP_1)
	v_fma_f64 v[34:35], v[114:115], v[108:109], v[2:3]
	v_and_b32_e32 v2, 0xffff, v1
	v_mul_u32_u24_e32 v2, 0xaaab, v2
	s_delay_alu instid0(VALU_DEP_1) | instskip(NEXT) | instid1(VALU_DEP_1)
	v_lshrrev_b32_e32 v50, 19, v2
	v_mul_lo_u16 v2, v50, 12
	s_delay_alu instid0(VALU_DEP_1) | instskip(NEXT) | instid1(VALU_DEP_1)
	v_sub_nc_u16 v51, v1, v2
	v_lshlrev_b16 v1, 5, v51
	s_delay_alu instid0(VALU_DEP_1) | instskip(NEXT) | instid1(VALU_DEP_1)
	v_and_b32_e32 v1, 0xffff, v1
	v_add_co_u32 v1, s0, s10, v1
	s_delay_alu instid0(VALU_DEP_1) | instskip(SKIP_3) | instid1(VALU_DEP_1)
	v_add_co_ci_u32_e64 v2, null, s11, 0, s0
	global_load_b128 v[112:115], v[1:2], off offset:160
	s_waitcnt vmcnt(0)
	v_mul_f64 v[3:4], v[118:119], v[114:115]
	v_fma_f64 v[36:37], v[116:117], v[112:113], -v[3:4]
	v_mul_f64 v[3:4], v[116:117], v[114:115]
	s_delay_alu instid0(VALU_DEP_1) | instskip(SKIP_3) | instid1(VALU_DEP_1)
	v_fma_f64 v[38:39], v[118:119], v[112:113], v[3:4]
	global_load_b128 v[116:119], v[1:2], off offset:176
	s_waitcnt vmcnt(0) lgkmcnt(0)
	v_mul_f64 v[1:2], v[70:71], v[118:119]
	v_fma_f64 v[40:41], v[68:69], v[116:117], -v[1:2]
	v_mul_f64 v[1:2], v[68:69], v[118:119]
	s_delay_alu instid0(VALU_DEP_1) | instskip(SKIP_1) | instid1(VALU_DEP_1)
	v_fma_f64 v[42:43], v[70:71], v[116:117], v[1:2]
	v_and_b32_e32 v1, 0xffff, v0
	v_mul_u32_u24_e32 v1, 0xaaab, v1
	s_delay_alu instid0(VALU_DEP_1) | instskip(NEXT) | instid1(VALU_DEP_1)
	v_lshrrev_b32_e32 v52, 19, v1
	v_mul_lo_u16 v1, v52, 12
	s_delay_alu instid0(VALU_DEP_1) | instskip(NEXT) | instid1(VALU_DEP_1)
	v_sub_nc_u16 v53, v0, v1
	v_lshlrev_b16 v0, 5, v53
	s_delay_alu instid0(VALU_DEP_1) | instskip(NEXT) | instid1(VALU_DEP_1)
	v_and_b32_e32 v0, 0xffff, v0
	v_add_co_u32 v2, s0, s10, v0
	s_delay_alu instid0(VALU_DEP_1)
	v_add_co_ci_u32_e64 v3, null, s11, 0, s0
	s_mov_b32 s0, 0xe8584caa
	s_mov_b32 s1, 0x3febb67a
	;; [unrolled: 1-line block ×3, first 2 shown]
	global_load_b128 v[60:63], v[2:3], off offset:160
	s_waitcnt vmcnt(0)
	v_mul_f64 v[0:1], v[74:75], v[62:63]
	v_mul_f64 v[4:5], v[72:73], v[62:63]
	scratch_store_b128 off, v[60:63], off offset:352 ; 16-byte Folded Spill
	v_fma_f64 v[0:1], v[72:73], v[60:61], -v[0:1]
	v_fma_f64 v[6:7], v[74:75], v[60:61], v[4:5]
	global_load_b128 v[60:63], v[2:3], off offset:176
	s_waitcnt vmcnt(0)
	v_mul_f64 v[2:3], v[142:143], v[62:63]
	v_mul_f64 v[4:5], v[140:141], v[62:63]
	scratch_store_b128 off, v[60:63], off offset:368 ; 16-byte Folded Spill
	s_waitcnt_vscnt null, 0x0
	s_barrier
	buffer_gl0_inv
	v_fma_f64 v[2:3], v[140:141], v[60:61], -v[2:3]
	v_fma_f64 v[4:5], v[142:143], v[60:61], v[4:5]
	v_add_f64 v[140:141], v[12:13], v[14:15]
	v_add_f64 v[142:143], v[8:9], v[10:11]
	s_delay_alu instid0(VALU_DEP_2) | instskip(NEXT) | instid1(VALU_DEP_2)
	v_fma_f64 v[140:141], v[140:141], -0.5, v[136:137]
	v_fma_f64 v[142:143], v[142:143], -0.5, v[138:139]
	v_add_f64 v[138:139], v[138:139], v[8:9]
	v_add_f64 v[136:137], v[136:137], v[12:13]
	s_delay_alu instid0(VALU_DEP_2) | instskip(NEXT) | instid1(VALU_DEP_2)
	v_add_f64 v[10:11], v[138:139], v[10:11]
	v_add_f64 v[8:9], v[136:137], v[14:15]
	v_add_f64 v[138:139], v[12:13], -v[14:15]
	v_fma_f64 v[12:13], v[145:146], s[0:1], v[140:141]
	v_fma_f64 v[136:137], v[145:146], s[12:13], v[140:141]
	v_add_f64 v[140:141], v[20:21], v[24:25]
	s_delay_alu instid0(VALU_DEP_4) | instskip(SKIP_1) | instid1(VALU_DEP_3)
	v_fma_f64 v[14:15], v[138:139], s[12:13], v[142:143]
	v_fma_f64 v[138:139], v[138:139], s[0:1], v[142:143]
	v_fma_f64 v[142:143], v[140:141], -0.5, v[132:133]
	v_add_f64 v[140:141], v[22:23], v[26:27]
	v_add_f64 v[132:133], v[132:133], v[20:21]
	v_add_f64 v[20:21], v[20:21], -v[24:25]
	s_delay_alu instid0(VALU_DEP_3) | instskip(SKIP_4) | instid1(VALU_DEP_4)
	v_fma_f64 v[147:148], v[140:141], -0.5, v[134:135]
	v_add_f64 v[134:135], v[134:135], v[22:23]
	v_add_f64 v[22:23], v[22:23], -v[26:27]
	v_add_f64 v[132:133], v[132:133], v[24:25]
	v_add_f64 v[24:25], v[128:129], v[28:29]
	;; [unrolled: 1-line block ×3, first 2 shown]
	s_delay_alu instid0(VALU_DEP_4)
	v_fma_f64 v[140:141], v[22:23], s[0:1], v[142:143]
	v_fma_f64 v[145:146], v[22:23], s[12:13], v[142:143]
	v_fma_f64 v[142:143], v[20:21], s[12:13], v[147:148]
	v_fma_f64 v[147:148], v[20:21], s[0:1], v[147:148]
	v_and_b32_e32 v20, 0xffff, v44
	v_add_f64 v[26:27], v[30:31], -v[34:35]
	s_delay_alu instid0(VALU_DEP_2) | instskip(NEXT) | instid1(VALU_DEP_1)
	v_mul_u32_u24_e32 v20, 36, v20
	v_add_lshl_u32 v44, v20, v45, 4
	ds_store_b128 v44, v[8:11]
	ds_store_b128 v44, v[12:15] offset:192
	v_add_f64 v[8:9], v[28:29], v[32:33]
	v_and_b32_e32 v12, 0xffff, v46
	scratch_store_b32 off, v44, off offset:348 ; 4-byte Folded Spill
	ds_store_b128 v44, v[136:139] offset:384
	v_add_f64 v[14:15], v[0:1], -v[2:3]
	v_mul_u32_u24_e32 v12, 36, v12
	s_delay_alu instid0(VALU_DEP_1)
	v_add_lshl_u32 v12, v12, v47, 4
	ds_store_b128 v12, v[132:135]
	ds_store_b128 v12, v[140:143] offset:192
	scratch_store_b32 off, v12, off offset:344 ; 4-byte Folded Spill
	ds_store_b128 v12, v[145:148] offset:384
	v_mad_u16 v12, v48, 36, v49
	s_delay_alu instid0(VALU_DEP_1) | instskip(NEXT) | instid1(VALU_DEP_1)
	v_and_b32_e32 v12, 0xffff, v12
	v_lshlrev_b32_e32 v12, 4, v12
	v_fma_f64 v[20:21], v[8:9], -0.5, v[128:129]
	v_add_f64 v[8:9], v[30:31], v[34:35]
	s_delay_alu instid0(VALU_DEP_2) | instskip(NEXT) | instid1(VALU_DEP_2)
	v_fma_f64 v[128:129], v[26:27], s[0:1], v[20:21]
	v_fma_f64 v[22:23], v[8:9], -0.5, v[130:131]
	v_add_f64 v[8:9], v[130:131], v[30:31]
	v_fma_f64 v[149:150], v[26:27], s[12:13], v[20:21]
	v_add_f64 v[20:21], v[36:37], v[40:41]
	v_add_f64 v[26:27], v[124:125], v[36:37]
	s_delay_alu instid0(VALU_DEP_4)
	v_add_f64 v[10:11], v[8:9], v[34:35]
	v_add_f64 v[8:9], v[24:25], v[32:33]
	v_add_f64 v[24:25], v[28:29], -v[32:33]
	v_fma_f64 v[20:21], v[20:21], -0.5, v[124:125]
	v_add_f64 v[28:29], v[38:39], -v[42:43]
	v_add_f64 v[124:125], v[26:27], v[40:41]
	s_delay_alu instid0(VALU_DEP_4)
	v_fma_f64 v[130:131], v[24:25], s[12:13], v[22:23]
	v_fma_f64 v[151:152], v[24:25], s[0:1], v[22:23]
	v_add_f64 v[22:23], v[38:39], v[42:43]
	v_add_f64 v[24:25], v[126:127], v[38:39]
	v_fma_f64 v[157:158], v[28:29], s[12:13], v[20:21]
	v_fma_f64 v[153:154], v[28:29], s[0:1], v[20:21]
	ds_store_b128 v12, v[8:11]
	ds_store_b128 v12, v[128:131] offset:192
	v_mad_u16 v8, v50, 36, v51
	scratch_store_b32 off, v12, off offset:340 ; 4-byte Folded Spill
	v_fma_f64 v[22:23], v[22:23], -0.5, v[126:127]
	v_add_f64 v[126:127], v[24:25], v[42:43]
	v_add_f64 v[24:25], v[36:37], -v[40:41]
	v_and_b32_e32 v8, 0xffff, v8
	ds_store_b128 v12, v[149:152] offset:384
	v_add_f64 v[10:11], v[6:7], v[4:5]
	v_add_f64 v[12:13], v[6:7], -v[4:5]
	v_lshlrev_b32_e32 v8, 4, v8
	v_fma_f64 v[159:160], v[24:25], s[0:1], v[22:23]
	v_fma_f64 v[155:156], v[24:25], s[12:13], v[22:23]
	ds_store_b128 v8, v[124:127]
	ds_store_b128 v8, v[153:156] offset:192
	scratch_store_b32 off, v8, off offset:336 ; 4-byte Folded Spill
	ds_store_b128 v8, v[157:160] offset:384
	v_mad_u16 v8, v52, 36, v53
	v_fma_f64 v[10:11], v[10:11], -0.5, v[122:123]
	scratch_store_b32 off, v8, off offset:332 ; 4-byte Folded Spill
	v_add_f64 v[8:9], v[0:1], v[2:3]
	v_fma_f64 v[218:219], v[14:15], s[0:1], v[10:11]
	s_delay_alu instid0(VALU_DEP_2) | instskip(NEXT) | instid1(VALU_DEP_1)
	v_fma_f64 v[8:9], v[8:9], -0.5, v[120:121]
	v_fma_f64 v[216:217], v[12:13], s[12:13], v[8:9]
	s_and_saveexec_b32 s12, vcc_lo
	s_cbranch_execz .LBB0_9
; %bb.8:
	v_mul_f64 v[14:15], v[14:15], s[0:1]
	v_add_f64 v[0:1], v[120:121], v[0:1]
	v_add_f64 v[20:21], v[122:123], v[6:7]
	v_mul_f64 v[22:23], v[12:13], s[0:1]
	s_delay_alu instid0(VALU_DEP_4) | instskip(NEXT) | instid1(VALU_DEP_4)
	v_add_f64 v[6:7], v[10:11], -v[14:15]
	v_add_f64 v[10:11], v[0:1], v[2:3]
	scratch_load_b32 v0, off, off offset:332 ; 4-byte Folded Reload
	v_add_f64 v[12:13], v[20:21], v[4:5]
	v_add_f64 v[4:5], v[22:23], v[8:9]
	s_waitcnt vmcnt(0)
	v_and_b32_e32 v0, 0xffff, v0
	s_delay_alu instid0(VALU_DEP_1)
	v_lshlrev_b32_e32 v0, 4, v0
	ds_store_b128 v0, v[10:13]
	ds_store_b128 v0, v[4:7] offset:192
	ds_store_b128 v0, v[216:219] offset:384
.LBB0_9:
	s_or_b32 exec_lo, exec_lo, s12
	v_mul_lo_u16 v0, v19, 57
	s_waitcnt lgkmcnt(0)
	s_waitcnt_vscnt null, 0x0
	s_barrier
	buffer_gl0_inv
	ds_load_b128 v[2:5], v16 offset:4032
	v_lshrrev_b16 v1, 11, v0
	s_mov_b32 s22, 0xe976ee23
	s_mov_b32 s23, 0xbfe11646
	s_mov_b32 s12, 0x36b3c0b5
	s_mov_b32 s14, 0x429ad128
	v_mul_lo_u16 v0, v1, 36
	s_mov_b32 s26, 0x37e14327
	s_mov_b32 s13, 0x3fac98ee
	;; [unrolled: 1-line block ×4, first 2 shown]
	v_sub_nc_u16 v0, v17, v0
	s_mov_b32 s18, 0xaaaaaaaa
	s_mov_b32 s20, 0x5476071b
	;; [unrolled: 1-line block ×4, first 2 shown]
	v_and_b32_e32 v0, 0xff, v0
	s_mov_b32 s19, 0xbff2aaaa
	s_mov_b32 s21, 0x3fe77f67
	s_mov_b32 s17, 0x3fdc38aa
	s_mov_b32 s29, 0xbfe77f67
	v_mad_u64_u32 v[8:9], null, 0x60, v0, s[10:11]
	s_mov_b32 s25, 0x3fd5d0dc
	s_mov_b32 s31, 0xbfd5d0dc
	;; [unrolled: 1-line block ×4, first 2 shown]
	v_and_b32_e32 v1, 0xffff, v1
	s_clause 0x3
	global_load_b128 v[120:123], v[8:9], off offset:544
	global_load_b128 v[124:127], v[8:9], off offset:560
	;; [unrolled: 1-line block ×4, first 2 shown]
	v_mul_u32_u24_e32 v1, 0xfc, v1
	global_load_b128 v[160:163], v[8:9], off offset:592
	s_waitcnt vmcnt(4) lgkmcnt(0)
	v_mul_f64 v[6:7], v[4:5], v[122:123]
	s_delay_alu instid0(VALU_DEP_1) | instskip(SKIP_1) | instid1(VALU_DEP_1)
	v_fma_f64 v[12:13], v[2:3], v[120:121], -v[6:7]
	v_mul_f64 v[2:3], v[2:3], v[122:123]
	v_fma_f64 v[14:15], v[4:5], v[120:121], v[2:3]
	ds_load_b128 v[2:5], v16 offset:8064
	s_waitcnt vmcnt(3) lgkmcnt(0)
	v_mul_f64 v[6:7], v[4:5], v[126:127]
	s_delay_alu instid0(VALU_DEP_1) | instskip(SKIP_1) | instid1(VALU_DEP_1)
	v_fma_f64 v[19:20], v[2:3], v[124:125], -v[6:7]
	v_mul_f64 v[2:3], v[2:3], v[126:127]
	v_fma_f64 v[21:22], v[4:5], v[124:125], v[2:3]
	ds_load_b128 v[2:5], v16 offset:24192
	s_waitcnt vmcnt(2) lgkmcnt(0)
	v_mul_f64 v[6:7], v[4:5], v[130:131]
	s_delay_alu instid0(VALU_DEP_1) | instskip(SKIP_1) | instid1(VALU_DEP_2)
	v_fma_f64 v[23:24], v[2:3], v[128:129], -v[6:7]
	v_mul_f64 v[2:3], v[2:3], v[130:131]
	v_add_f64 v[176:177], v[12:13], v[23:24]
	s_delay_alu instid0(VALU_DEP_2)
	v_fma_f64 v[25:26], v[4:5], v[128:129], v[2:3]
	ds_load_b128 v[2:5], v16 offset:20160
	v_add_f64 v[23:24], v[12:13], -v[23:24]
	s_waitcnt vmcnt(1) lgkmcnt(0)
	v_mul_f64 v[6:7], v[4:5], v[134:135]
	v_add_f64 v[184:185], v[14:15], v[25:26]
	v_add_f64 v[25:26], v[14:15], -v[25:26]
	s_delay_alu instid0(VALU_DEP_3) | instskip(SKIP_1) | instid1(VALU_DEP_2)
	v_fma_f64 v[27:28], v[2:3], v[132:133], -v[6:7]
	v_mul_f64 v[2:3], v[2:3], v[134:135]
	v_add_f64 v[178:179], v[19:20], v[27:28]
	s_delay_alu instid0(VALU_DEP_2) | instskip(SKIP_3) | instid1(VALU_DEP_1)
	v_fma_f64 v[29:30], v[4:5], v[132:133], v[2:3]
	v_mul_lo_u16 v2, v144, 57
	ds_load_b128 v[4:7], v16 offset:6048
	v_lshrrev_b16 v2, 11, v2
	v_mul_lo_u16 v3, v2, 36
	s_delay_alu instid0(VALU_DEP_1) | instskip(SKIP_1) | instid1(VALU_DEP_2)
	v_sub_nc_u16 v3, v18, v3
	v_add_f64 v[18:19], v[19:20], -v[27:28]
	v_and_b32_e32 v3, 0xff, v3
	s_delay_alu instid0(VALU_DEP_1)
	v_mad_u64_u32 v[10:11], null, 0x60, v3, s[10:11]
	s_clause 0x3
	global_load_b128 v[136:139], v[10:11], off offset:544
	global_load_b128 v[140:143], v[10:11], off offset:560
	;; [unrolled: 1-line block ×4, first 2 shown]
	v_add_f64 v[186:187], v[21:22], v[29:30]
	v_add_f64 v[12:13], v[21:22], -v[29:30]
	global_load_b128 v[164:167], v[10:11], off offset:592
	v_add_f64 v[29:30], v[18:19], -v[23:24]
	s_waitcnt vmcnt(4) lgkmcnt(0)
	v_mul_f64 v[31:32], v[6:7], v[138:139]
	s_delay_alu instid0(VALU_DEP_1) | instskip(SKIP_1) | instid1(VALU_DEP_1)
	v_fma_f64 v[31:32], v[4:5], v[136:137], -v[31:32]
	v_mul_f64 v[4:5], v[4:5], v[138:139]
	v_fma_f64 v[33:34], v[6:7], v[136:137], v[4:5]
	ds_load_b128 v[4:7], v16 offset:10080
	s_waitcnt vmcnt(3) lgkmcnt(0)
	v_mul_f64 v[35:36], v[6:7], v[142:143]
	s_delay_alu instid0(VALU_DEP_1) | instskip(SKIP_1) | instid1(VALU_DEP_1)
	v_fma_f64 v[35:36], v[4:5], v[140:141], -v[35:36]
	v_mul_f64 v[4:5], v[4:5], v[142:143]
	v_fma_f64 v[37:38], v[6:7], v[140:141], v[4:5]
	ds_load_b128 v[4:7], v16 offset:26208
	s_waitcnt vmcnt(2) lgkmcnt(0)
	v_mul_f64 v[39:40], v[6:7], v[146:147]
	s_delay_alu instid0(VALU_DEP_1) | instskip(SKIP_1) | instid1(VALU_DEP_2)
	v_fma_f64 v[39:40], v[4:5], v[144:145], -v[39:40]
	v_mul_f64 v[4:5], v[4:5], v[146:147]
	v_add_f64 v[204:205], v[31:32], v[39:40]
	s_delay_alu instid0(VALU_DEP_2) | instskip(SKIP_4) | instid1(VALU_DEP_2)
	v_fma_f64 v[41:42], v[6:7], v[144:145], v[4:5]
	ds_load_b128 v[4:7], v16 offset:22176
	s_waitcnt vmcnt(1) lgkmcnt(0)
	v_mul_f64 v[152:153], v[6:7], v[150:151]
	v_add_f64 v[212:213], v[33:34], v[41:42]
	v_fma_f64 v[188:189], v[4:5], v[148:149], -v[152:153]
	global_load_b128 v[152:155], v[8:9], off offset:576
	v_mul_f64 v[4:5], v[4:5], v[150:151]
	v_add_f64 v[206:207], v[35:36], v[188:189]
	s_delay_alu instid0(VALU_DEP_2) | instskip(SKIP_4) | instid1(VALU_DEP_1)
	v_fma_f64 v[190:191], v[6:7], v[148:149], v[4:5]
	ds_load_b128 v[4:7], v16 offset:12096
	v_add_f64 v[214:215], v[37:38], v[190:191]
	s_waitcnt vmcnt(0) lgkmcnt(0)
	v_mul_f64 v[156:157], v[6:7], v[154:155]
	v_fma_f64 v[168:169], v[4:5], v[152:153], -v[156:157]
	global_load_b128 v[156:159], v[10:11], off offset:576
	v_mul_f64 v[4:5], v[4:5], v[154:155]
	s_delay_alu instid0(VALU_DEP_1) | instskip(SKIP_3) | instid1(VALU_DEP_1)
	v_fma_f64 v[170:171], v[6:7], v[152:153], v[4:5]
	ds_load_b128 v[4:7], v16 offset:16128
	s_waitcnt lgkmcnt(0)
	v_mul_f64 v[8:9], v[6:7], v[162:163]
	v_fma_f64 v[172:173], v[4:5], v[160:161], -v[8:9]
	v_mul_f64 v[4:5], v[4:5], v[162:163]
	s_delay_alu instid0(VALU_DEP_2) | instskip(NEXT) | instid1(VALU_DEP_2)
	v_add_f64 v[180:181], v[168:169], v[172:173]
	v_fma_f64 v[174:175], v[6:7], v[160:161], v[4:5]
	ds_load_b128 v[4:7], v16 offset:14112
	v_add_f64 v[27:28], v[172:173], -v[168:169]
	v_add_f64 v[172:173], v[12:13], -v[25:26]
	;; [unrolled: 1-line block ×3, first 2 shown]
	v_add_f64 v[200:201], v[170:171], v[174:175]
	v_add_f64 v[20:21], v[174:175], -v[170:171]
	v_add_f64 v[14:15], v[27:28], -v[18:19]
	v_add_f64 v[18:19], v[27:28], v[18:19]
	v_add_f64 v[174:175], v[178:179], -v[176:177]
	v_add_f64 v[226:227], v[200:201], -v[186:187]
	;; [unrolled: 1-line block ×3, first 2 shown]
	v_add_f64 v[12:13], v[20:21], v[12:13]
	v_add_f64 v[18:19], v[18:19], v[23:24]
	v_add_f64 v[22:23], v[23:24], -v[27:28]
	v_add_f64 v[20:21], v[25:26], -v[20:21]
	v_mul_f64 v[228:229], v[168:169], s[22:23]
	v_add_f64 v[230:231], v[12:13], v[25:26]
	v_mul_f64 v[12:13], v[224:225], s[12:13]
	v_mul_f64 v[24:25], v[29:30], s[14:15]
	;; [unrolled: 1-line block ×3, first 2 shown]
	s_delay_alu instid0(VALU_DEP_3) | instskip(NEXT) | instid1(VALU_DEP_3)
	v_fma_f64 v[12:13], v[174:175], s[20:21], -v[12:13]
	v_fma_f64 v[24:25], v[22:23], s[30:31], -v[24:25]
	s_delay_alu instid0(VALU_DEP_3) | instskip(SKIP_3) | instid1(VALU_DEP_4)
	v_fma_f64 v[26:27], v[20:21], s[30:31], -v[26:27]
	v_fma_f64 v[20:21], v[20:21], s[24:25], v[228:229]
	s_waitcnt vmcnt(0) lgkmcnt(0)
	v_mul_f64 v[8:9], v[6:7], v[158:159]
	v_fma_f64 v[24:25], v[18:19], s[16:17], v[24:25]
	s_delay_alu instid0(VALU_DEP_4) | instskip(NEXT) | instid1(VALU_DEP_4)
	v_fma_f64 v[26:27], v[230:231], s[16:17], v[26:27]
	v_fma_f64 v[20:21], v[230:231], s[16:17], v[20:21]
	s_delay_alu instid0(VALU_DEP_4) | instskip(SKIP_1) | instid1(VALU_DEP_1)
	v_fma_f64 v[192:193], v[4:5], v[156:157], -v[8:9]
	v_mul_f64 v[4:5], v[4:5], v[158:159]
	v_fma_f64 v[194:195], v[6:7], v[156:157], v[4:5]
	ds_load_b128 v[4:7], v16 offset:18144
	s_waitcnt lgkmcnt(0)
	v_mul_f64 v[8:9], v[6:7], v[166:167]
	s_delay_alu instid0(VALU_DEP_1) | instskip(SKIP_2) | instid1(VALU_DEP_3)
	v_fma_f64 v[196:197], v[4:5], v[164:165], -v[8:9]
	v_mul_f64 v[4:5], v[4:5], v[166:167]
	v_add_f64 v[8:9], v[206:207], v[204:205]
	v_add_f64 v[208:209], v[192:193], v[196:197]
	s_delay_alu instid0(VALU_DEP_3)
	v_fma_f64 v[198:199], v[6:7], v[164:165], v[4:5]
	v_add_f64 v[4:5], v[178:179], v[176:177]
	v_add_f64 v[178:179], v[186:187], -v[184:185]
	v_add_f64 v[176:177], v[176:177], -v[180:181]
	v_add_f64 v[210:211], v[208:209], v[8:9]
	v_add_f64 v[220:221], v[194:195], v[198:199]
	;; [unrolled: 1-line block ×5, first 2 shown]
	v_mul_f64 v[186:187], v[14:15], s[22:23]
	v_add_f64 v[180:181], v[184:185], -v[200:201]
	v_mul_f64 v[14:15], v[226:227], s[12:13]
	v_add_f64 v[202:203], v[200:201], v[4:5]
	ds_load_b128 v[4:7], v16
	v_add_f64 v[222:223], v[220:221], v[8:9]
	ds_load_b128 v[8:11], v16 offset:2016
	v_fma_f64 v[168:169], v[29:30], s[14:15], -v[186:187]
	v_mul_f64 v[28:29], v[176:177], s[26:27]
	v_mul_f64 v[180:181], v[180:181], s[26:27]
	v_fma_f64 v[14:15], v[178:179], s[20:21], -v[14:15]
	v_fma_f64 v[22:23], v[22:23], s[24:25], v[186:187]
	s_waitcnt lgkmcnt(0)
	s_barrier
	buffer_gl0_inv
	v_add_f64 v[4:5], v[4:5], v[182:183]
	v_add_f64 v[8:9], v[8:9], v[210:211]
	;; [unrolled: 1-line block ×4, first 2 shown]
	v_fma_f64 v[170:171], v[18:19], s[16:17], v[168:169]
	v_fma_f64 v[168:169], v[172:173], s[14:15], -v[228:229]
	v_fma_f64 v[172:173], v[174:175], s[28:29], -v[28:29]
	;; [unrolled: 1-line block ×3, first 2 shown]
	v_fma_f64 v[18:19], v[18:19], s[16:17], v[22:23]
	v_fma_f64 v[182:183], v[182:183], s[18:19], v[4:5]
	;; [unrolled: 1-line block ×4, first 2 shown]
	s_delay_alu instid0(VALU_DEP_3) | instskip(SKIP_1) | instid1(VALU_DEP_4)
	v_add_f64 v[176:177], v[172:173], v[182:183]
	v_add_f64 v[232:233], v[12:13], v[182:183]
	;; [unrolled: 1-line block ×4, first 2 shown]
	s_delay_alu instid0(VALU_DEP_4)
	v_add_f64 v[172:173], v[26:27], v[176:177]
	v_add_f64 v[176:177], v[176:177], -v[26:27]
	v_fma_f64 v[26:27], v[226:227], s[12:13], v[180:181]
	v_add_f64 v[12:13], v[232:233], -v[168:169]
	v_add_f64 v[168:169], v[168:169], v[232:233]
	v_add_f64 v[174:175], v[178:179], -v[24:25]
	v_add_f64 v[178:179], v[24:25], v[178:179]
	v_fma_f64 v[24:25], v[224:225], s[12:13], v[28:29]
	v_add_f64 v[28:29], v[33:34], -v[41:42]
	v_add_f64 v[42:43], v[220:221], -v[214:215]
	v_add_f64 v[14:15], v[170:171], v[234:235]
	v_add_f64 v[170:171], v[234:235], -v[170:171]
	v_add_f64 v[22:23], v[24:25], v[182:183]
	v_add_f64 v[24:25], v[26:27], v[202:203]
	v_add_f64 v[26:27], v[198:199], -v[194:195]
	s_delay_alu instid0(VALU_DEP_3) | instskip(NEXT) | instid1(VALU_DEP_3)
	v_add_f64 v[180:181], v[20:21], v[22:23]
	v_add_f64 v[182:183], v[24:25], -v[18:19]
	v_add_f64 v[184:185], v[22:23], -v[20:21]
	v_add_f64 v[186:187], v[18:19], v[24:25]
	v_add_f64 v[18:19], v[35:36], -v[188:189]
	v_add_f64 v[20:21], v[196:197], -v[192:193]
	;; [unrolled: 1-line block ×7, first 2 shown]
	v_mul_f64 v[190:191], v[42:43], s[12:13]
	v_fma_f64 v[206:207], v[210:211], s[18:19], v[8:9]
	v_fma_f64 v[210:211], v[222:223], s[18:19], v[10:11]
	v_add_f64 v[30:31], v[20:21], -v[18:19]
	v_add_f64 v[32:33], v[18:19], -v[22:23]
	v_add_f64 v[18:19], v[20:21], v[18:19]
	v_add_f64 v[34:35], v[26:27], -v[24:25]
	v_add_f64 v[36:37], v[24:25], -v[28:29]
	v_add_f64 v[24:25], v[26:27], v[24:25]
	v_mul_f64 v[188:189], v[38:39], s[12:13]
	v_fma_f64 v[190:191], v[196:197], s[20:21], -v[190:191]
	v_add_f64 v[20:21], v[22:23], -v[20:21]
	v_mul_f64 v[30:31], v[30:31], s[22:23]
	v_add_f64 v[18:19], v[18:19], v[22:23]
	v_mul_f64 v[34:35], v[34:35], s[22:23]
	v_add_f64 v[22:23], v[28:29], -v[26:27]
	v_add_f64 v[24:25], v[24:25], v[28:29]
	v_fma_f64 v[188:189], v[40:41], s[20:21], -v[188:189]
	v_add_f64 v[200:201], v[190:191], v[210:211]
	v_mul_f64 v[26:27], v[32:33], s[14:15]
	v_mul_f64 v[28:29], v[36:37], s[14:15]
	v_fma_f64 v[192:193], v[32:33], s[14:15], -v[30:31]
	v_add_f64 v[198:199], v[188:189], v[206:207]
	s_delay_alu instid0(VALU_DEP_4) | instskip(NEXT) | instid1(VALU_DEP_4)
	v_fma_f64 v[26:27], v[20:21], s[30:31], -v[26:27]
	v_fma_f64 v[28:29], v[22:23], s[30:31], -v[28:29]
	v_fma_f64 v[20:21], v[20:21], s[24:25], v[30:31]
	v_fma_f64 v[22:23], v[22:23], s[24:25], v[34:35]
	;; [unrolled: 1-line block ×3, first 2 shown]
	v_fma_f64 v[192:193], v[36:37], s[14:15], -v[34:35]
	v_fma_f64 v[26:27], v[18:19], s[16:17], v[26:27]
	v_fma_f64 v[28:29], v[24:25], s[16:17], v[28:29]
	;; [unrolled: 1-line block ×4, first 2 shown]
	v_add_f64 v[190:191], v[194:195], v[200:201]
	v_fma_f64 v[192:193], v[24:25], s[16:17], v[192:193]
	v_add_f64 v[194:195], v[200:201], -v[194:195]
	v_add_f64 v[200:201], v[212:213], -v[220:221]
	s_delay_alu instid0(VALU_DEP_3) | instskip(SKIP_2) | instid1(VALU_DEP_4)
	v_add_f64 v[188:189], v[198:199], -v[192:193]
	v_add_f64 v[192:193], v[192:193], v[198:199]
	v_add_f64 v[198:199], v[204:205], -v[208:209]
	v_mul_f64 v[36:37], v[200:201], s[26:27]
	s_delay_alu instid0(VALU_DEP_2) | instskip(NEXT) | instid1(VALU_DEP_2)
	v_mul_f64 v[32:33], v[198:199], s[26:27]
	v_fma_f64 v[196:197], v[196:197], s[28:29], -v[36:37]
	s_delay_alu instid0(VALU_DEP_2) | instskip(NEXT) | instid1(VALU_DEP_2)
	v_fma_f64 v[40:41], v[40:41], s[28:29], -v[32:33]
	v_add_f64 v[202:203], v[196:197], v[210:211]
	s_delay_alu instid0(VALU_DEP_2) | instskip(NEXT) | instid1(VALU_DEP_2)
	v_add_f64 v[40:41], v[40:41], v[206:207]
	v_add_f64 v[198:199], v[202:203], -v[26:27]
	v_add_f64 v[202:203], v[26:27], v[202:203]
	v_fma_f64 v[26:27], v[38:39], s[12:13], v[32:33]
	s_delay_alu instid0(VALU_DEP_4) | instskip(SKIP_2) | instid1(VALU_DEP_4)
	v_add_f64 v[196:197], v[28:29], v[40:41]
	v_add_f64 v[200:201], v[40:41], -v[28:29]
	v_fma_f64 v[28:29], v[42:43], s[12:13], v[36:37]
	v_add_f64 v[22:23], v[26:27], v[206:207]
	s_delay_alu instid0(VALU_DEP_2) | instskip(NEXT) | instid1(VALU_DEP_2)
	v_add_f64 v[24:25], v[28:29], v[210:211]
	v_add_f64 v[204:205], v[20:21], v[22:23]
	v_add_f64 v[208:209], v[22:23], -v[20:21]
	s_delay_alu instid0(VALU_DEP_3)
	v_add_f64 v[206:207], v[24:25], -v[18:19]
	v_add_f64 v[210:211], v[18:19], v[24:25]
	v_add_lshl_u32 v19, v1, v0, 4
	v_and_b32_e32 v0, 0xffff, v2
	ds_store_b128 v19, v[4:7]
	ds_store_b128 v19, v[180:183] offset:576
	ds_store_b128 v19, v[172:175] offset:1152
	;; [unrolled: 1-line block ×6, first 2 shown]
	v_mul_u32_u24_e32 v0, 0xfc, v0
	v_mad_u64_u32 v[4:5], null, 0x60, v17, s[10:11]
	s_delay_alu instid0(VALU_DEP_2)
	v_add_lshl_u32 v18, v0, v3, 4
	ds_store_b128 v18, v[8:11]
	ds_store_b128 v18, v[204:207] offset:576
	ds_store_b128 v18, v[196:199] offset:1152
	;; [unrolled: 1-line block ×6, first 2 shown]
	s_waitcnt lgkmcnt(0)
	s_barrier
	buffer_gl0_inv
	s_clause 0x3
	global_load_b128 v[168:171], v[4:5], off offset:4000
	global_load_b128 v[172:175], v[4:5], off offset:4016
	;; [unrolled: 1-line block ×4, first 2 shown]
	ds_load_b128 v[0:3], v16 offset:4032
	s_clause 0x1
	global_load_b128 v[200:203], v[4:5], off offset:4032
	global_load_b128 v[208:211], v[4:5], off offset:4048
	s_waitcnt vmcnt(5) lgkmcnt(0)
	v_mul_f64 v[6:7], v[2:3], v[170:171]
	s_delay_alu instid0(VALU_DEP_1) | instskip(SKIP_1) | instid1(VALU_DEP_1)
	v_fma_f64 v[8:9], v[0:1], v[168:169], -v[6:7]
	v_mul_f64 v[0:1], v[0:1], v[170:171]
	v_fma_f64 v[10:11], v[2:3], v[168:169], v[0:1]
	ds_load_b128 v[0:3], v16 offset:8064
	s_waitcnt vmcnt(4) lgkmcnt(0)
	v_mul_f64 v[6:7], v[2:3], v[174:175]
	s_delay_alu instid0(VALU_DEP_1) | instskip(SKIP_1) | instid1(VALU_DEP_1)
	v_fma_f64 v[12:13], v[0:1], v[172:173], -v[6:7]
	v_mul_f64 v[0:1], v[0:1], v[174:175]
	v_fma_f64 v[14:15], v[2:3], v[172:173], v[0:1]
	ds_load_b128 v[0:3], v16 offset:24192
	s_waitcnt vmcnt(3) lgkmcnt(0)
	v_mul_f64 v[6:7], v[2:3], v[178:179]
	s_delay_alu instid0(VALU_DEP_1) | instskip(SKIP_1) | instid1(VALU_DEP_2)
	v_fma_f64 v[20:21], v[0:1], v[176:177], -v[6:7]
	v_mul_f64 v[0:1], v[0:1], v[178:179]
	v_add_f64 v[234:235], v[8:9], v[20:21]
	s_delay_alu instid0(VALU_DEP_2)
	v_fma_f64 v[22:23], v[2:3], v[176:177], v[0:1]
	ds_load_b128 v[0:3], v16 offset:20160
	v_add_f64 v[20:21], v[8:9], -v[20:21]
	s_waitcnt vmcnt(2) lgkmcnt(0)
	v_mul_f64 v[6:7], v[2:3], v[182:183]
	v_add_f64 v[242:243], v[10:11], v[22:23]
	v_add_f64 v[22:23], v[10:11], -v[22:23]
	s_delay_alu instid0(VALU_DEP_3) | instskip(SKIP_1) | instid1(VALU_DEP_1)
	v_fma_f64 v[24:25], v[0:1], v[180:181], -v[6:7]
	v_add_co_u32 v6, s0, 0x2f40, v4
	v_add_co_ci_u32_e64 v7, s0, 0, v5, s0
	v_mul_f64 v[0:1], v[0:1], v[182:183]
	s_clause 0x4
	global_load_b128 v[184:187], v[6:7], off offset:4000
	global_load_b128 v[188:191], v[6:7], off offset:4016
	global_load_b128 v[192:195], v[6:7], off offset:4080
	global_load_b128 v[196:199], v[6:7], off offset:4064
	global_load_b128 v[212:215], v[6:7], off offset:4048
	v_add_f64 v[236:237], v[12:13], v[24:25]
	v_add_f64 v[12:13], v[12:13], -v[24:25]
	v_fma_f64 v[26:27], v[2:3], v[180:181], v[0:1]
	ds_load_b128 v[0:3], v16 offset:6048
	v_add_f64 v[244:245], v[14:15], v[26:27]
	v_add_f64 v[8:9], v[14:15], -v[26:27]
	s_delay_alu instid0(VALU_DEP_2) | instskip(SKIP_2) | instid1(VALU_DEP_1)
	v_add_f64 v[70:71], v[244:245], -v[242:243]
	s_waitcnt vmcnt(4) lgkmcnt(0)
	v_mul_f64 v[28:29], v[2:3], v[186:187]
	v_fma_f64 v[28:29], v[0:1], v[184:185], -v[28:29]
	v_mul_f64 v[0:1], v[0:1], v[186:187]
	s_delay_alu instid0(VALU_DEP_1) | instskip(SKIP_3) | instid1(VALU_DEP_1)
	v_fma_f64 v[30:31], v[2:3], v[184:185], v[0:1]
	ds_load_b128 v[0:3], v16 offset:10080
	s_waitcnt vmcnt(3) lgkmcnt(0)
	v_mul_f64 v[32:33], v[2:3], v[190:191]
	v_fma_f64 v[32:33], v[0:1], v[188:189], -v[32:33]
	v_mul_f64 v[0:1], v[0:1], v[190:191]
	s_delay_alu instid0(VALU_DEP_1) | instskip(SKIP_3) | instid1(VALU_DEP_1)
	v_fma_f64 v[34:35], v[2:3], v[188:189], v[0:1]
	ds_load_b128 v[0:3], v16 offset:26208
	s_waitcnt vmcnt(2) lgkmcnt(0)
	v_mul_f64 v[36:37], v[2:3], v[194:195]
	v_fma_f64 v[36:37], v[0:1], v[192:193], -v[36:37]
	v_mul_f64 v[0:1], v[0:1], v[194:195]
	s_delay_alu instid0(VALU_DEP_2) | instskip(NEXT) | instid1(VALU_DEP_2)
	v_add_f64 v[254:255], v[28:29], v[36:37]
	v_fma_f64 v[38:39], v[2:3], v[192:193], v[0:1]
	ds_load_b128 v[0:3], v16 offset:22176
	s_waitcnt vmcnt(1) lgkmcnt(0)
	v_mul_f64 v[40:41], v[2:3], v[198:199]
	v_add_f64 v[48:49], v[30:31], v[38:39]
	v_add_f64 v[30:31], v[30:31], -v[38:39]
	s_delay_alu instid0(VALU_DEP_3) | instskip(SKIP_1) | instid1(VALU_DEP_2)
	v_fma_f64 v[40:41], v[0:1], v[196:197], -v[40:41]
	v_mul_f64 v[0:1], v[0:1], v[198:199]
	v_add_f64 v[252:253], v[32:33], v[40:41]
	s_delay_alu instid0(VALU_DEP_2) | instskip(SKIP_4) | instid1(VALU_DEP_2)
	v_fma_f64 v[42:43], v[2:3], v[196:197], v[0:1]
	ds_load_b128 v[0:3], v16 offset:12096
	s_waitcnt lgkmcnt(0)
	v_mul_f64 v[204:205], v[2:3], v[202:203]
	v_add_f64 v[50:51], v[34:35], v[42:43]
	v_fma_f64 v[220:221], v[0:1], v[200:201], -v[204:205]
	global_load_b128 v[204:207], v[6:7], off offset:4032
	v_mul_f64 v[0:1], v[0:1], v[202:203]
	s_delay_alu instid0(VALU_DEP_1) | instskip(SKIP_3) | instid1(VALU_DEP_1)
	v_fma_f64 v[222:223], v[2:3], v[200:201], v[0:1]
	ds_load_b128 v[0:3], v16 offset:16128
	s_waitcnt lgkmcnt(0)
	v_mul_f64 v[4:5], v[2:3], v[210:211]
	v_fma_f64 v[224:225], v[0:1], v[208:209], -v[4:5]
	v_mul_f64 v[0:1], v[0:1], v[210:211]
	s_delay_alu instid0(VALU_DEP_2) | instskip(NEXT) | instid1(VALU_DEP_2)
	v_add_f64 v[24:25], v[224:225], -v[220:221]
	v_fma_f64 v[226:227], v[2:3], v[208:209], v[0:1]
	ds_load_b128 v[0:3], v16 offset:14112
	v_add_f64 v[238:239], v[220:221], v[224:225]
	v_add_f64 v[220:221], v[12:13], -v[20:21]
	v_add_f64 v[10:11], v[24:25], -v[12:13]
	v_add_f64 v[246:247], v[222:223], v[226:227]
	v_add_f64 v[26:27], v[226:227], -v[222:223]
	v_add_f64 v[12:13], v[24:25], v[12:13]
	v_add_f64 v[222:223], v[8:9], -v[22:23]
	v_add_f64 v[224:225], v[238:239], -v[236:237]
	;; [unrolled: 1-line block ×5, first 2 shown]
	v_add_f64 v[8:9], v[26:27], v[8:9]
	v_add_f64 v[74:75], v[12:13], v[20:21]
	v_add_f64 v[20:21], v[20:21], -v[24:25]
	v_mul_f64 v[24:25], v[220:221], s[14:15]
	v_mul_f64 v[72:73], v[14:15], s[22:23]
	v_add_f64 v[60:61], v[8:9], v[22:23]
	v_mul_f64 v[8:9], v[224:225], s[12:13]
	v_add_f64 v[22:23], v[22:23], -v[26:27]
	v_mul_f64 v[26:27], v[222:223], s[14:15]
	v_fma_f64 v[24:25], v[20:21], s[30:31], -v[24:25]
	s_delay_alu instid0(VALU_DEP_4) | instskip(NEXT) | instid1(VALU_DEP_3)
	v_fma_f64 v[8:9], v[226:227], s[20:21], -v[8:9]
	v_fma_f64 v[26:27], v[22:23], s[30:31], -v[26:27]
	s_delay_alu instid0(VALU_DEP_3) | instskip(SKIP_3) | instid1(VALU_DEP_4)
	v_fma_f64 v[24:25], v[74:75], s[16:17], v[24:25]
	v_fma_f64 v[22:23], v[22:23], s[24:25], v[72:73]
	s_waitcnt vmcnt(0) lgkmcnt(0)
	v_mul_f64 v[4:5], v[2:3], v[206:207]
	v_fma_f64 v[26:27], v[60:61], s[16:17], v[26:27]
	s_delay_alu instid0(VALU_DEP_3) | instskip(NEXT) | instid1(VALU_DEP_3)
	v_fma_f64 v[22:23], v[60:61], s[16:17], v[22:23]
	v_fma_f64 v[228:229], v[0:1], v[204:205], -v[4:5]
	v_mul_f64 v[0:1], v[0:1], v[206:207]
	s_delay_alu instid0(VALU_DEP_1) | instskip(SKIP_3) | instid1(VALU_DEP_1)
	v_fma_f64 v[230:231], v[2:3], v[204:205], v[0:1]
	ds_load_b128 v[0:3], v16 offset:18144
	s_waitcnt lgkmcnt(0)
	v_mul_f64 v[4:5], v[2:3], v[214:215]
	v_fma_f64 v[232:233], v[0:1], v[212:213], -v[4:5]
	v_mul_f64 v[0:1], v[0:1], v[214:215]
	v_add_f64 v[4:5], v[252:253], v[254:255]
	s_delay_alu instid0(VALU_DEP_3) | instskip(NEXT) | instid1(VALU_DEP_3)
	v_add_f64 v[44:45], v[228:229], v[232:233]
	v_fma_f64 v[250:251], v[2:3], v[212:213], v[0:1]
	v_add_f64 v[0:1], v[236:237], v[234:235]
	v_add_f64 v[234:235], v[234:235], -v[238:239]
	s_delay_alu instid0(VALU_DEP_4) | instskip(NEXT) | instid1(VALU_DEP_4)
	v_add_f64 v[46:47], v[44:45], v[4:5]
	v_add_f64 v[52:53], v[230:231], v[250:251]
	s_delay_alu instid0(VALU_DEP_4) | instskip(SKIP_4) | instid1(VALU_DEP_4)
	v_add_f64 v[240:241], v[238:239], v[0:1]
	v_add_f64 v[0:1], v[244:245], v[242:243]
	;; [unrolled: 1-line block ×3, first 2 shown]
	v_mul_f64 v[244:245], v[10:11], s[22:23]
	v_mul_f64 v[10:11], v[68:69], s[12:13]
	v_add_f64 v[248:249], v[246:247], v[0:1]
	ds_load_b128 v[0:3], v16
	v_add_f64 v[54:55], v[52:53], v[4:5]
	ds_load_b128 v[4:7], v16 offset:2016
	v_fma_f64 v[12:13], v[220:221], s[14:15], -v[244:245]
	v_mul_f64 v[220:221], v[234:235], s[26:27]
	v_fma_f64 v[10:11], v[70:71], s[20:21], -v[10:11]
	v_fma_f64 v[20:21], v[20:21], s[24:25], v[244:245]
	s_waitcnt lgkmcnt(1)
	v_add_f64 v[0:1], v[0:1], v[240:241]
	s_waitcnt lgkmcnt(0)
	v_add_f64 v[4:5], v[4:5], v[46:47]
	v_add_f64 v[2:3], v[2:3], v[248:249]
	;; [unrolled: 1-line block ×3, first 2 shown]
	v_fma_f64 v[14:15], v[74:75], s[16:17], v[12:13]
	v_fma_f64 v[12:13], v[222:223], s[14:15], -v[72:73]
	v_fma_f64 v[226:227], v[226:227], s[28:29], -v[220:221]
	v_fma_f64 v[20:21], v[74:75], s[16:17], v[20:21]
	v_fma_f64 v[62:63], v[240:241], s[18:19], v[0:1]
	;; [unrolled: 1-line block ×6, first 2 shown]
	v_add_f64 v[60:61], v[52:53], -v[50:51]
	v_add_f64 v[50:51], v[50:51], -v[48:49]
	;; [unrolled: 1-line block ×3, first 2 shown]
	v_add_f64 v[236:237], v[8:9], v[62:63]
	v_add_f64 v[226:227], v[226:227], v[62:63]
	;; [unrolled: 1-line block ×3, first 2 shown]
	s_delay_alu instid0(VALU_DEP_3)
	v_add_f64 v[8:9], v[236:237], -v[12:13]
	v_add_f64 v[12:13], v[12:13], v[236:237]
	v_add_f64 v[236:237], v[242:243], -v[246:247]
	v_add_f64 v[234:235], v[26:27], v[226:227]
	;; [unrolled: 2-line block ×3, first 2 shown]
	v_add_f64 v[14:15], v[240:241], -v[14:15]
	v_mul_f64 v[222:223], v[236:237], s[26:27]
	s_delay_alu instid0(VALU_DEP_1) | instskip(SKIP_2) | instid1(VALU_DEP_3)
	v_fma_f64 v[70:71], v[70:71], s[28:29], -v[222:223]
	v_fma_f64 v[26:27], v[68:69], s[12:13], v[222:223]
	v_mul_f64 v[68:69], v[60:61], s[12:13]
	v_add_f64 v[70:71], v[70:71], v[248:249]
	s_delay_alu instid0(VALU_DEP_3) | instskip(NEXT) | instid1(VALU_DEP_3)
	v_add_f64 v[26:27], v[26:27], v[248:249]
	v_fma_f64 v[68:69], v[50:51], s[20:21], -v[68:69]
	s_delay_alu instid0(VALU_DEP_3)
	v_add_f64 v[236:237], v[70:71], -v[24:25]
	v_add_f64 v[240:241], v[24:25], v[70:71]
	v_fma_f64 v[24:25], v[224:225], s[12:13], v[220:221]
	v_add_f64 v[244:245], v[26:27], -v[20:21]
	v_add_f64 v[248:249], v[20:21], v[26:27]
	v_add_f64 v[20:21], v[32:33], -v[40:41]
	v_add_f64 v[26:27], v[34:35], -v[42:43]
	;; [unrolled: 1-line block ×5, first 2 shown]
	v_add_f64 v[68:69], v[68:69], v[54:55]
	v_add_f64 v[24:25], v[24:25], v[62:63]
	v_add_f64 v[38:39], v[26:27], -v[30:31]
	v_mul_f64 v[62:63], v[40:41], s[12:13]
	s_delay_alu instid0(VALU_DEP_3)
	v_add_f64 v[242:243], v[22:23], v[24:25]
	v_add_f64 v[246:247], v[24:25], -v[22:23]
	v_add_f64 v[22:23], v[232:233], -v[228:229]
	v_add_f64 v[24:25], v[28:29], -v[36:37]
	v_add_f64 v[28:29], v[250:251], -v[230:231]
	v_fma_f64 v[62:63], v[42:43], s[20:21], -v[62:63]
	s_delay_alu instid0(VALU_DEP_4) | instskip(NEXT) | instid1(VALU_DEP_4)
	v_add_f64 v[32:33], v[22:23], -v[20:21]
	v_add_f64 v[34:35], v[20:21], -v[24:25]
	s_delay_alu instid0(VALU_DEP_4)
	v_add_f64 v[36:37], v[28:29], -v[26:27]
	v_add_f64 v[20:21], v[22:23], v[20:21]
	v_add_f64 v[26:27], v[28:29], v[26:27]
	v_add_f64 v[22:23], v[24:25], -v[22:23]
	v_add_f64 v[62:63], v[62:63], v[46:47]
	v_mul_f64 v[32:33], v[32:33], s[22:23]
	v_mul_f64 v[36:37], v[36:37], s[22:23]
	v_add_f64 v[20:21], v[20:21], v[24:25]
	v_add_f64 v[26:27], v[26:27], v[30:31]
	v_add_f64 v[24:25], v[30:31], -v[28:29]
	v_mul_f64 v[28:29], v[34:35], s[14:15]
	v_mul_f64 v[30:31], v[38:39], s[14:15]
	v_fma_f64 v[70:71], v[34:35], s[14:15], -v[32:33]
	v_mul_f64 v[34:35], v[44:45], s[26:27]
	v_fma_f64 v[72:73], v[38:39], s[14:15], -v[36:37]
	;; [unrolled: 2-line block ×3, first 2 shown]
	v_fma_f64 v[30:31], v[24:25], s[30:31], -v[30:31]
	v_fma_f64 v[22:23], v[22:23], s[24:25], v[32:33]
	v_fma_f64 v[24:25], v[24:25], s[24:25], v[36:37]
	;; [unrolled: 1-line block ×3, first 2 shown]
	v_fma_f64 v[42:43], v[42:43], s[28:29], -v[34:35]
	v_fma_f64 v[72:73], v[26:27], s[16:17], v[72:73]
	v_fma_f64 v[44:45], v[50:51], s[28:29], -v[38:39]
	v_fma_f64 v[28:29], v[20:21], s[16:17], v[28:29]
	v_fma_f64 v[30:31], v[26:27], s[16:17], v[30:31]
	;; [unrolled: 1-line block ×4, first 2 shown]
	v_add_f64 v[252:253], v[70:71], v[68:69]
	v_add_f64 v[42:43], v[42:43], v[46:47]
	v_add_f64 v[250:251], v[62:63], -v[72:73]
	v_add_f64 v[44:45], v[44:45], v[54:55]
	v_add_f64 v[220:221], v[72:73], v[62:63]
	v_add_f64 v[222:223], v[68:69], -v[70:71]
	v_add_f64 v[224:225], v[30:31], v[42:43]
	v_add_f64 v[228:229], v[42:43], -v[30:31]
	v_add_f64 v[226:227], v[44:45], -v[28:29]
	v_add_f64 v[230:231], v[28:29], v[44:45]
	v_fma_f64 v[28:29], v[40:41], s[12:13], v[34:35]
	v_fma_f64 v[30:31], v[60:61], s[12:13], v[38:39]
	v_lshlrev_b32_e32 v44, 5, v17
	s_delay_alu instid0(VALU_DEP_3) | instskip(NEXT) | instid1(VALU_DEP_3)
	v_add_f64 v[26:27], v[28:29], v[46:47]
	v_add_f64 v[28:29], v[30:31], v[54:55]
	s_delay_alu instid0(VALU_DEP_2) | instskip(NEXT) | instid1(VALU_DEP_2)
	v_add_f64 v[20:21], v[24:25], v[26:27]
	v_add_f64 v[22:23], v[28:29], -v[32:33]
	v_add_f64 v[24:25], v[26:27], -v[24:25]
	v_add_f64 v[26:27], v[32:33], v[28:29]
	ds_store_b128 v16, v[0:3]
	ds_store_b128 v16, v[4:7] offset:2016
	ds_store_b128 v16, v[242:245] offset:4032
	;; [unrolled: 1-line block ×13, first 2 shown]
	v_lshlrev_b32_e32 v0, 4, v17
	s_waitcnt lgkmcnt(0)
	s_barrier
	buffer_gl0_inv
	ds_load_b128 v[6:9], v16
	ds_load_b128 v[24:27], v16 offset:2016
	v_add_co_u32 v0, s0, s8, v0
	s_delay_alu instid0(VALU_DEP_1) | instskip(SKIP_3) | instid1(VALU_DEP_1)
	v_add_co_ci_u32_e64 v1, null, s9, 0, s0
	ds_load_b128 v[224:227], v16 offset:16128
	ds_load_b128 v[238:241], v16 offset:18144
	v_add_co_u32 v2, s0, 0x6000, v0
	v_add_co_ci_u32_e64 v3, s0, 0, v1, s0
	ds_load_b128 v[234:237], v16 offset:4032
	ds_load_b128 v[244:247], v16 offset:6048
	;; [unrolled: 1-line block ×3, first 2 shown]
	global_load_b128 v[2:5], v[2:3], off offset:3648
	ds_load_b128 v[34:37], v16 offset:24192
	ds_load_b128 v[38:41], v16 offset:12096
	ds_load_b128 v[30:33], v16 offset:10080
	s_waitcnt vmcnt(0) lgkmcnt(9)
	v_mul_f64 v[10:11], v[8:9], v[4:5]
	v_mul_f64 v[12:13], v[6:7], v[4:5]
	s_delay_alu instid0(VALU_DEP_2) | instskip(NEXT) | instid1(VALU_DEP_2)
	v_fma_f64 v[4:5], v[6:7], v[2:3], -v[10:11]
	v_fma_f64 v[6:7], v[8:9], v[2:3], v[12:13]
	v_add_co_u32 v2, s0, 0xa000, v0
	s_delay_alu instid0(VALU_DEP_1)
	v_add_co_ci_u32_e64 v3, s0, 0, v1, s0
	ds_load_b128 v[12:15], v16 offset:14112
	s_clause 0x1
	global_load_b128 v[8:11], v[2:3], off offset:1376
	global_load_b128 v[220:223], v[2:3], off offset:3392
	s_waitcnt vmcnt(1) lgkmcnt(0)
	v_mul_f64 v[20:21], v[14:15], v[10:11]
	v_mul_f64 v[22:23], v[12:13], v[10:11]
	s_waitcnt vmcnt(0)
	v_mul_f64 v[2:3], v[226:227], v[222:223]
	s_delay_alu instid0(VALU_DEP_3) | instskip(NEXT) | instid1(VALU_DEP_3)
	v_fma_f64 v[10:11], v[12:13], v[8:9], -v[20:21]
	v_fma_f64 v[12:13], v[14:15], v[8:9], v[22:23]
	v_add_co_u32 v8, s0, 0x6e40, v0
	s_delay_alu instid0(VALU_DEP_1) | instskip(SKIP_4) | instid1(VALU_DEP_2)
	v_add_co_ci_u32_e64 v9, s0, 0, v1, s0
	global_load_b128 v[20:23], v[8:9], off offset:2016
	s_waitcnt vmcnt(0)
	v_mul_f64 v[14:15], v[26:27], v[22:23]
	v_mul_f64 v[28:29], v[24:25], v[22:23]
	v_fma_f64 v[22:23], v[24:25], v[20:21], -v[14:15]
	v_mul_f64 v[14:15], v[224:225], v[222:223]
	v_fma_f64 v[222:223], v[224:225], v[220:221], -v[2:3]
	s_delay_alu instid0(VALU_DEP_4)
	v_fma_f64 v[24:25], v[26:27], v[20:21], v[28:29]
	ds_load_b128 v[26:29], v16 offset:22176
	v_fma_f64 v[224:225], v[226:227], v[220:221], v[14:15]
	global_load_b128 v[226:229], v[8:9], off offset:4032
	s_waitcnt vmcnt(0)
	v_mul_f64 v[2:3], v[236:237], v[228:229]
	v_mul_f64 v[8:9], v[234:235], v[228:229]
	s_delay_alu instid0(VALU_DEP_2) | instskip(SKIP_1) | instid1(VALU_DEP_1)
	v_fma_f64 v[228:229], v[234:235], v[226:227], -v[2:3]
	v_add_co_u32 v2, s0, 0xb000, v0
	v_add_co_ci_u32_e64 v3, s0, 0, v1, s0
	s_delay_alu instid0(VALU_DEP_4) | instskip(SKIP_4) | instid1(VALU_DEP_2)
	v_fma_f64 v[230:231], v[236:237], v[226:227], v[8:9]
	global_load_b128 v[234:237], v[2:3], off offset:1312
	s_waitcnt vmcnt(0)
	v_mul_f64 v[8:9], v[240:241], v[236:237]
	v_mul_f64 v[14:15], v[238:239], v[236:237]
	v_fma_f64 v[236:237], v[238:239], v[234:235], -v[8:9]
	v_add_co_u32 v8, s0, 0x8000, v0
	s_delay_alu instid0(VALU_DEP_1) | instskip(NEXT) | instid1(VALU_DEP_4)
	v_add_co_ci_u32_e64 v9, s0, 0, v1, s0
	v_fma_f64 v[238:239], v[240:241], v[234:235], v[14:15]
	ds_load_b128 v[232:235], v16 offset:8064
	global_load_b128 v[240:243], v[8:9], off offset:1504
	s_waitcnt vmcnt(0)
	v_mul_f64 v[14:15], v[246:247], v[242:243]
	v_mul_f64 v[20:21], v[244:245], v[242:243]
	s_delay_alu instid0(VALU_DEP_2) | instskip(NEXT) | instid1(VALU_DEP_2)
	v_fma_f64 v[242:243], v[244:245], v[240:241], -v[14:15]
	v_fma_f64 v[244:245], v[246:247], v[240:241], v[20:21]
	global_load_b128 v[246:249], v[2:3], off offset:3328
	s_waitcnt vmcnt(0)
	v_mul_f64 v[2:3], v[252:253], v[248:249]
	v_mul_f64 v[14:15], v[250:251], v[248:249]
	s_delay_alu instid0(VALU_DEP_2) | instskip(NEXT) | instid1(VALU_DEP_2)
	v_fma_f64 v[248:249], v[250:251], v[246:247], -v[2:3]
	v_fma_f64 v[250:251], v[252:253], v[246:247], v[14:15]
	global_load_b128 v[252:255], v[8:9], off offset:3520
	s_waitcnt vmcnt(0) lgkmcnt(0)
	v_mul_f64 v[2:3], v[234:235], v[254:255]
	v_mul_f64 v[8:9], v[232:233], v[254:255]
	s_delay_alu instid0(VALU_DEP_2) | instskip(SKIP_1) | instid1(VALU_DEP_1)
	v_fma_f64 v[232:233], v[232:233], v[252:253], -v[2:3]
	v_add_co_u32 v2, s0, 0xc000, v0
	v_add_co_ci_u32_e64 v3, s0, 0, v1, s0
	s_delay_alu instid0(VALU_DEP_4) | instskip(SKIP_4) | instid1(VALU_DEP_2)
	v_fma_f64 v[234:235], v[234:235], v[252:253], v[8:9]
	global_load_b128 v[252:255], v[2:3], off offset:1248
	s_waitcnt vmcnt(0)
	v_mul_f64 v[8:9], v[28:29], v[254:255]
	v_mul_f64 v[14:15], v[26:27], v[254:255]
	v_fma_f64 v[26:27], v[26:27], v[252:253], -v[8:9]
	v_add_co_u32 v8, s0, 0x9000, v0
	s_delay_alu instid0(VALU_DEP_1) | instskip(NEXT) | instid1(VALU_DEP_4)
	v_add_co_ci_u32_e64 v9, s0, 0, v1, s0
	v_fma_f64 v[28:29], v[28:29], v[252:253], v[14:15]
	v_add_co_u32 v0, s0, 0xd000, v0
	global_load_b128 v[252:255], v[8:9], off offset:1440
	v_add_co_ci_u32_e64 v1, s0, 0, v1, s0
	s_waitcnt vmcnt(0)
	v_mul_f64 v[14:15], v[32:33], v[254:255]
	v_mul_f64 v[20:21], v[30:31], v[254:255]
	s_delay_alu instid0(VALU_DEP_2) | instskip(NEXT) | instid1(VALU_DEP_2)
	v_fma_f64 v[30:31], v[30:31], v[252:253], -v[14:15]
	v_fma_f64 v[32:33], v[32:33], v[252:253], v[20:21]
	global_load_b128 v[252:255], v[2:3], off offset:3264
	s_waitcnt vmcnt(0)
	v_mul_f64 v[2:3], v[36:37], v[254:255]
	v_mul_f64 v[14:15], v[34:35], v[254:255]
	s_delay_alu instid0(VALU_DEP_2) | instskip(NEXT) | instid1(VALU_DEP_2)
	v_fma_f64 v[34:35], v[34:35], v[252:253], -v[2:3]
	v_fma_f64 v[36:37], v[36:37], v[252:253], v[14:15]
	global_load_b128 v[252:255], v[8:9], off offset:3456
	s_waitcnt vmcnt(0)
	v_mul_f64 v[2:3], v[40:41], v[254:255]
	v_mul_f64 v[8:9], v[38:39], v[254:255]
	s_delay_alu instid0(VALU_DEP_2)
	v_fma_f64 v[38:39], v[38:39], v[252:253], -v[2:3]
	global_load_b128 v[0:3], v[0:1], off offset:1184
	v_fma_f64 v[40:41], v[40:41], v[252:253], v[8:9]
	ds_load_b128 v[252:255], v16 offset:26208
	s_waitcnt vmcnt(0) lgkmcnt(0)
	v_mul_f64 v[8:9], v[254:255], v[2:3]
	v_mul_f64 v[2:3], v[252:253], v[2:3]
	s_delay_alu instid0(VALU_DEP_2) | instskip(NEXT) | instid1(VALU_DEP_2)
	v_fma_f64 v[252:253], v[252:253], v[0:1], -v[8:9]
	v_fma_f64 v[254:255], v[254:255], v[0:1], v[2:3]
	ds_store_b128 v16, v[4:7]
	ds_store_b128 v16, v[22:25] offset:2016
	ds_store_b128 v16, v[222:225] offset:16128
	;; [unrolled: 1-line block ×13, first 2 shown]
	s_waitcnt lgkmcnt(0)
	s_barrier
	buffer_gl0_inv
	ds_load_b128 v[0:3], v16 offset:14112
	ds_load_b128 v[4:7], v16
	ds_load_b128 v[8:11], v16 offset:2016
	ds_load_b128 v[12:15], v16 offset:16128
	;; [unrolled: 1-line block ×12, first 2 shown]
	s_waitcnt lgkmcnt(0)
	s_barrier
	buffer_gl0_inv
	v_add_f64 v[0:1], v[4:5], -v[0:1]
	v_add_f64 v[2:3], v[6:7], -v[2:3]
	s_delay_alu instid0(VALU_DEP_2) | instskip(NEXT) | instid1(VALU_DEP_2)
	v_fma_f64 v[4:5], v[4:5], 2.0, -v[0:1]
	v_fma_f64 v[6:7], v[6:7], 2.0, -v[2:3]
	ds_store_b128 v44, v[0:3] offset:16
	ds_store_b128 v44, v[4:7]
	v_add_f64 v[0:1], v[8:9], -v[12:13]
	v_add_f64 v[2:3], v[10:11], -v[14:15]
	s_delay_alu instid0(VALU_DEP_2)
	v_fma_f64 v[4:5], v[8:9], 2.0, -v[0:1]
	scratch_load_b32 v8, off, off offset:328 ; 4-byte Folded Reload
	v_fma_f64 v[6:7], v[10:11], 2.0, -v[2:3]
	s_waitcnt vmcnt(0)
	ds_store_b128 v8, v[4:7]
	ds_store_b128 v8, v[0:3] offset:16
	scratch_load_b32 v8, off, off offset:324 ; 4-byte Folded Reload
	v_add_f64 v[0:1], v[24:25], -v[20:21]
	v_add_f64 v[2:3], v[26:27], -v[22:23]
	s_delay_alu instid0(VALU_DEP_2) | instskip(NEXT) | instid1(VALU_DEP_2)
	v_fma_f64 v[4:5], v[24:25], 2.0, -v[0:1]
	v_fma_f64 v[6:7], v[26:27], 2.0, -v[2:3]
	s_waitcnt vmcnt(0)
	ds_store_b128 v8, v[4:7]
	ds_store_b128 v8, v[0:3] offset:16
	scratch_load_b32 v8, off, off offset:320 ; 4-byte Folded Reload
	v_add_f64 v[0:1], v[28:29], -v[32:33]
	v_add_f64 v[2:3], v[30:31], -v[34:35]
	s_delay_alu instid0(VALU_DEP_2) | instskip(NEXT) | instid1(VALU_DEP_2)
	v_fma_f64 v[4:5], v[28:29], 2.0, -v[0:1]
	;; [unrolled: 9-line block ×5, first 2 shown]
	v_fma_f64 v[6:7], v[230:231], 2.0, -v[2:3]
	s_waitcnt vmcnt(0)
	ds_store_b128 v8, v[4:7]
	ds_store_b128 v8, v[0:3] offset:16
	s_waitcnt lgkmcnt(0)
	s_barrier
	buffer_gl0_inv
	ds_load_b128 v[0:3], v16 offset:14112
	s_waitcnt lgkmcnt(0)
	v_mul_f64 v[4:5], v[58:59], v[2:3]
	s_delay_alu instid0(VALU_DEP_1) | instskip(SKIP_1) | instid1(VALU_DEP_1)
	v_fma_f64 v[4:5], v[56:57], v[0:1], v[4:5]
	v_mul_f64 v[0:1], v[58:59], v[0:1]
	v_fma_f64 v[6:7], v[56:57], v[2:3], -v[0:1]
	ds_load_b128 v[0:3], v16 offset:16128
	s_waitcnt lgkmcnt(0)
	v_mul_f64 v[8:9], v[58:59], v[2:3]
	s_delay_alu instid0(VALU_DEP_1) | instskip(SKIP_1) | instid1(VALU_DEP_1)
	v_fma_f64 v[36:37], v[56:57], v[0:1], v[8:9]
	v_mul_f64 v[0:1], v[58:59], v[0:1]
	v_fma_f64 v[38:39], v[56:57], v[2:3], -v[0:1]
	;; [unrolled: 7-line block ×7, first 2 shown]
	ds_load_b128 v[0:3], v16
	ds_load_b128 v[8:11], v16 offset:2016
	ds_load_b128 v[12:15], v16 offset:12096
	;; [unrolled: 1-line block ×6, first 2 shown]
	s_waitcnt lgkmcnt(0)
	s_barrier
	buffer_gl0_inv
	scratch_load_b32 v58, off, off offset:252 ; 4-byte Folded Reload
	v_add_f64 v[248:249], v[12:13], -v[60:61]
	v_add_f64 v[4:5], v[0:1], -v[4:5]
	;; [unrolled: 1-line block ×4, first 2 shown]
	s_delay_alu instid0(VALU_DEP_4) | instskip(NEXT) | instid1(VALU_DEP_4)
	v_fma_f64 v[56:57], v[12:13], 2.0, -v[248:249]
	v_fma_f64 v[0:1], v[0:1], 2.0, -v[4:5]
	s_delay_alu instid0(VALU_DEP_4)
	v_fma_f64 v[2:3], v[2:3], 2.0, -v[6:7]
	s_waitcnt vmcnt(0)
	ds_store_b128 v58, v[4:7] offset:32
	ds_store_b128 v58, v[0:3]
	v_add_f64 v[0:1], v[8:9], -v[36:37]
	v_add_f64 v[2:3], v[10:11], -v[38:39]
	v_fma_f64 v[58:59], v[14:15], 2.0, -v[250:251]
	s_delay_alu instid0(VALU_DEP_3)
	v_fma_f64 v[4:5], v[8:9], 2.0, -v[0:1]
	scratch_load_b32 v8, off, off offset:296 ; 4-byte Folded Reload
	v_fma_f64 v[6:7], v[10:11], 2.0, -v[2:3]
	s_waitcnt vmcnt(0)
	ds_store_b128 v8, v[4:7]
	ds_store_b128 v8, v[0:3] offset:32
	scratch_load_b32 v8, off, off offset:292 ; 4-byte Folded Reload
	v_add_f64 v[0:1], v[20:21], -v[40:41]
	v_add_f64 v[2:3], v[22:23], -v[42:43]
	s_delay_alu instid0(VALU_DEP_2) | instskip(NEXT) | instid1(VALU_DEP_2)
	v_fma_f64 v[4:5], v[20:21], 2.0, -v[0:1]
	v_fma_f64 v[6:7], v[22:23], 2.0, -v[2:3]
	s_waitcnt vmcnt(0)
	ds_store_b128 v8, v[4:7]
	ds_store_b128 v8, v[0:3] offset:32
	scratch_load_b32 v8, off, off offset:284 ; 4-byte Folded Reload
	v_add_f64 v[0:1], v[24:25], -v[44:45]
	v_add_f64 v[2:3], v[26:27], -v[46:47]
	s_delay_alu instid0(VALU_DEP_2) | instskip(NEXT) | instid1(VALU_DEP_2)
	v_fma_f64 v[4:5], v[24:25], 2.0, -v[0:1]
	;; [unrolled: 9-line block ×4, first 2 shown]
	v_fma_f64 v[6:7], v[34:35], 2.0, -v[2:3]
	s_waitcnt vmcnt(0)
	ds_store_b128 v8, v[4:7]
	ds_store_b128 v8, v[0:3] offset:32
	scratch_load_b32 v0, off, off offset:248 ; 4-byte Folded Reload
	s_waitcnt vmcnt(0)
	ds_store_b128 v0, v[56:59]
	ds_store_b128 v0, v[248:251] offset:32
	s_waitcnt lgkmcnt(0)
	s_barrier
	buffer_gl0_inv
	ds_load_b128 v[232:235], v16
	ds_load_b128 v[228:231], v16 offset:2016
	ds_load_b128 v[12:15], v16 offset:9408
	;; [unrolled: 1-line block ×11, first 2 shown]
	s_and_saveexec_b32 s0, vcc_lo
	s_cbranch_execz .LBB0_11
; %bb.10:
	ds_load_b128 v[56:59], v16 offset:8064
	ds_load_b128 v[248:251], v16 offset:17472
	;; [unrolled: 1-line block ×3, first 2 shown]
.LBB0_11:
	s_or_b32 exec_lo, exec_lo, s0
	s_waitcnt lgkmcnt(9)
	v_mul_f64 v[20:21], v[78:79], v[14:15]
	scratch_load_b128 v[46:49], off, off offset:232 ; 16-byte Folded Reload
	s_mov_b32 s0, 0xe8584caa
	s_mov_b32 s1, 0xbfebb67a
	;; [unrolled: 1-line block ×4, first 2 shown]
	v_fma_f64 v[20:21], v[76:77], v[12:13], v[20:21]
	v_mul_f64 v[12:13], v[78:79], v[12:13]
	s_delay_alu instid0(VALU_DEP_1) | instskip(SKIP_2) | instid1(VALU_DEP_1)
	v_fma_f64 v[12:13], v[76:77], v[14:15], -v[12:13]
	s_waitcnt lgkmcnt(3)
	v_mul_f64 v[14:15], v[78:79], v[10:11]
	v_fma_f64 v[14:15], v[76:77], v[8:9], v[14:15]
	v_mul_f64 v[8:9], v[78:79], v[8:9]
	s_delay_alu instid0(VALU_DEP_1) | instskip(SKIP_2) | instid1(VALU_DEP_1)
	v_fma_f64 v[22:23], v[76:77], v[10:11], -v[8:9]
	s_waitcnt lgkmcnt(1)
	v_mul_f64 v[8:9], v[78:79], v[250:251]
	v_fma_f64 v[28:29], v[76:77], v[248:249], v[8:9]
	v_mul_f64 v[8:9], v[78:79], v[248:249]
	s_delay_alu instid0(VALU_DEP_1) | instskip(SKIP_1) | instid1(VALU_DEP_1)
	v_fma_f64 v[30:31], v[76:77], v[250:251], -v[8:9]
	v_mul_f64 v[8:9], v[66:67], v[2:3]
	v_fma_f64 v[8:9], v[64:65], v[0:1], v[8:9]
	v_mul_f64 v[0:1], v[66:67], v[0:1]
	s_delay_alu instid0(VALU_DEP_1) | instskip(SKIP_1) | instid1(VALU_DEP_1)
	v_fma_f64 v[0:1], v[64:65], v[2:3], -v[0:1]
	v_mul_f64 v[2:3], v[66:67], v[6:7]
	v_fma_f64 v[24:25], v[64:65], v[4:5], v[2:3]
	v_mul_f64 v[2:3], v[66:67], v[4:5]
	scratch_load_b64 v[4:5], off, off offset:272 ; 8-byte Folded Reload
	v_fma_f64 v[26:27], v[64:65], v[6:7], -v[2:3]
	scratch_load_b64 v[6:7], off, off offset:260 ; 8-byte Folded Reload
	s_waitcnt lgkmcnt(0)
	v_mul_f64 v[2:3], v[66:67], v[218:219]
	s_waitcnt vmcnt(0)
	s_barrier
	buffer_gl0_inv
	v_fma_f64 v[32:33], v[64:65], v[216:217], v[2:3]
	v_mul_f64 v[2:3], v[66:67], v[216:217]
	s_delay_alu instid0(VALU_DEP_1) | instskip(SKIP_2) | instid1(VALU_DEP_2)
	v_fma_f64 v[34:35], v[64:65], v[218:219], -v[2:3]
	v_mul_f64 v[2:3], v[4:5], v[254:255]
	v_mul_f64 v[4:5], v[4:5], v[252:253]
	v_fma_f64 v[36:37], v[84:85], v[252:253], v[2:3]
	v_mul_f64 v[2:3], v[86:87], v[242:243]
	s_delay_alu instid0(VALU_DEP_3) | instskip(SKIP_1) | instid1(VALU_DEP_3)
	v_fma_f64 v[38:39], v[84:85], v[254:255], -v[4:5]
	v_mul_f64 v[4:5], v[86:87], v[240:241]
	v_fma_f64 v[40:41], v[82:83], v[240:241], v[2:3]
	v_mul_f64 v[2:3], v[80:81], v[246:247]
	s_delay_alu instid0(VALU_DEP_3) | instskip(SKIP_1) | instid1(VALU_DEP_3)
	v_fma_f64 v[42:43], v[82:83], v[242:243], -v[4:5]
	;; [unrolled: 5-line block ×3, first 2 shown]
	v_mul_f64 v[4:5], v[48:49], v[236:237]
	v_fma_f64 v[48:49], v[6:7], v[236:237], v[2:3]
	v_add_f64 v[2:3], v[20:21], v[8:9]
	s_delay_alu instid0(VALU_DEP_3) | instskip(SKIP_2) | instid1(VALU_DEP_4)
	v_fma_f64 v[50:51], v[6:7], v[238:239], -v[4:5]
	v_add_f64 v[4:5], v[232:233], v[20:21]
	v_add_f64 v[20:21], v[20:21], -v[8:9]
	v_fma_f64 v[6:7], v[2:3], -0.5, v[232:233]
	v_add_f64 v[2:3], v[12:13], v[0:1]
	s_delay_alu instid0(VALU_DEP_1) | instskip(SKIP_2) | instid1(VALU_DEP_2)
	v_fma_f64 v[10:11], v[2:3], -0.5, v[234:235]
	v_add_f64 v[2:3], v[234:235], v[12:13]
	v_add_f64 v[12:13], v[12:13], -v[0:1]
	v_add_f64 v[2:3], v[2:3], v[0:1]
	v_add_f64 v[0:1], v[4:5], v[8:9]
	s_delay_alu instid0(VALU_DEP_3)
	v_fma_f64 v[4:5], v[12:13], s[0:1], v[6:7]
	v_fma_f64 v[8:9], v[12:13], s[8:9], v[6:7]
	scratch_load_b32 v12, off, off offset:308 ; 4-byte Folded Reload
	v_fma_f64 v[6:7], v[20:21], s[8:9], v[10:11]
	v_fma_f64 v[10:11], v[20:21], s[0:1], v[10:11]
	v_add_f64 v[20:21], v[220:221], v[44:45]
	s_waitcnt vmcnt(0)
	ds_store_b128 v12, v[0:3]
	ds_store_b128 v12, v[4:7] offset:64
	ds_store_b128 v12, v[8:11] offset:128
	v_add_f64 v[0:1], v[48:49], v[40:41]
	v_add_f64 v[4:5], v[228:229], v[48:49]
	v_add_f64 v[8:9], v[50:51], -v[42:43]
	v_add_f64 v[12:13], v[48:49], -v[40:41]
	s_delay_alu instid0(VALU_DEP_4) | instskip(SKIP_1) | instid1(VALU_DEP_1)
	v_fma_f64 v[6:7], v[0:1], -0.5, v[228:229]
	v_add_f64 v[0:1], v[50:51], v[42:43]
	v_fma_f64 v[10:11], v[0:1], -0.5, v[230:231]
	v_add_f64 v[0:1], v[230:231], v[50:51]
	s_delay_alu instid0(VALU_DEP_1)
	v_add_f64 v[2:3], v[0:1], v[42:43]
	v_add_f64 v[0:1], v[4:5], v[40:41]
	v_fma_f64 v[4:5], v[8:9], s[0:1], v[6:7]
	v_fma_f64 v[8:9], v[8:9], s[8:9], v[6:7]
	;; [unrolled: 1-line block ×4, first 2 shown]
	scratch_load_b32 v12, off, off offset:300 ; 4-byte Folded Reload
	v_add_f64 v[42:43], v[56:57], v[28:29]
	v_add_f64 v[40:41], v[58:59], v[30:31]
	s_waitcnt vmcnt(0)
	ds_store_b128 v12, v[0:3]
	ds_store_b128 v12, v[4:7] offset:64
	ds_store_b128 v12, v[8:11] offset:128
	v_add_f64 v[0:1], v[14:15], v[24:25]
	v_add_f64 v[4:5], v[224:225], v[14:15]
	v_add_f64 v[8:9], v[22:23], -v[26:27]
	v_add_f64 v[12:13], v[14:15], -v[24:25]
	s_delay_alu instid0(VALU_DEP_4) | instskip(SKIP_1) | instid1(VALU_DEP_1)
	v_fma_f64 v[6:7], v[0:1], -0.5, v[224:225]
	v_add_f64 v[0:1], v[22:23], v[26:27]
	v_fma_f64 v[10:11], v[0:1], -0.5, v[226:227]
	v_add_f64 v[0:1], v[226:227], v[22:23]
	s_delay_alu instid0(VALU_DEP_1)
	v_add_f64 v[2:3], v[0:1], v[26:27]
	v_add_f64 v[0:1], v[4:5], v[24:25]
	v_fma_f64 v[4:5], v[8:9], s[0:1], v[6:7]
	v_fma_f64 v[8:9], v[8:9], s[8:9], v[6:7]
	;; [unrolled: 1-line block ×4, first 2 shown]
	v_add_f64 v[12:13], v[44:45], v[36:37]
	v_add_f64 v[24:25], v[46:47], -v[38:39]
	s_delay_alu instid0(VALU_DEP_2) | instskip(SKIP_1) | instid1(VALU_DEP_1)
	v_fma_f64 v[22:23], v[12:13], -0.5, v[220:221]
	v_add_f64 v[12:13], v[46:47], v[38:39]
	v_fma_f64 v[26:27], v[12:13], -0.5, v[222:223]
	v_add_f64 v[12:13], v[222:223], v[46:47]
	s_delay_alu instid0(VALU_DEP_1)
	v_add_f64 v[14:15], v[12:13], v[38:39]
	v_add_f64 v[12:13], v[20:21], v[36:37]
	v_add_f64 v[36:37], v[44:45], -v[36:37]
	v_add_f64 v[38:39], v[30:31], v[34:35]
	v_fma_f64 v[20:21], v[24:25], s[0:1], v[22:23]
	v_fma_f64 v[24:25], v[24:25], s[8:9], v[22:23]
	v_add_f64 v[30:31], v[30:31], -v[34:35]
	v_fma_f64 v[22:23], v[36:37], s[8:9], v[26:27]
	v_fma_f64 v[26:27], v[36:37], s[0:1], v[26:27]
	v_add_f64 v[36:37], v[28:29], v[32:33]
	v_fma_f64 v[38:39], v[38:39], -0.5, v[58:59]
	v_add_f64 v[28:29], v[28:29], -v[32:33]
	v_add_f64 v[58:59], v[40:41], v[34:35]
	s_delay_alu instid0(VALU_DEP_4) | instskip(SKIP_1) | instid1(VALU_DEP_4)
	v_fma_f64 v[36:37], v[36:37], -0.5, v[56:57]
	v_add_f64 v[56:57], v[42:43], v[32:33]
	v_fma_f64 v[62:63], v[28:29], s[8:9], v[38:39]
	v_fma_f64 v[66:67], v[28:29], s[0:1], v[38:39]
	scratch_load_b32 v28, off, off offset:288 ; 4-byte Folded Reload
	s_waitcnt vmcnt(0)
	ds_store_b128 v28, v[0:3]
	ds_store_b128 v28, v[4:7] offset:64
	ds_store_b128 v28, v[8:11] offset:128
	scratch_load_b32 v0, off, off offset:280 ; 4-byte Folded Reload
	v_fma_f64 v[60:61], v[30:31], s[0:1], v[36:37]
	v_fma_f64 v[64:65], v[30:31], s[8:9], v[36:37]
	s_waitcnt vmcnt(0)
	ds_store_b128 v0, v[12:15]
	ds_store_b128 v0, v[20:23] offset:64
	ds_store_b128 v0, v[24:27] offset:128
	s_and_saveexec_b32 s0, vcc_lo
	s_cbranch_execz .LBB0_13
; %bb.12:
	scratch_load_b32 v0, off, off offset:384 ; 4-byte Folded Reload
	v_and_b32_e32 v1, 3, v17
	s_waitcnt vmcnt(0)
	v_mul_u32_u24_e32 v0, 12, v0
	s_delay_alu instid0(VALU_DEP_1) | instskip(NEXT) | instid1(VALU_DEP_1)
	v_or_b32_e32 v0, v0, v1
	v_lshlrev_b32_e32 v0, 4, v0
	ds_store_b128 v0, v[56:59]
	ds_store_b128 v0, v[60:63] offset:64
	ds_store_b128 v0, v[64:67] offset:128
.LBB0_13:
	s_or_b32 exec_lo, exec_lo, s0
	s_waitcnt lgkmcnt(0)
	s_barrier
	buffer_gl0_inv
	ds_load_b128 v[216:219], v16
	ds_load_b128 v[84:87], v16 offset:2016
	ds_load_b128 v[232:235], v16 offset:9408
	;; [unrolled: 1-line block ×11, first 2 shown]
	s_and_saveexec_b32 s0, vcc_lo
	s_cbranch_execz .LBB0_15
; %bb.14:
	ds_load_b128 v[56:59], v16 offset:8064
	ds_load_b128 v[60:63], v16 offset:17472
	;; [unrolled: 1-line block ×3, first 2 shown]
.LBB0_15:
	s_or_b32 exec_lo, exec_lo, s0
	s_waitcnt lgkmcnt(8)
	v_mul_f64 v[28:29], v[98:99], v[14:15]
	v_mul_f64 v[20:21], v[90:91], v[234:235]
	s_waitcnt lgkmcnt(7)
	v_mul_f64 v[24:25], v[94:95], v[230:231]
	v_mul_f64 v[22:23], v[90:91], v[232:233]
	;; [unrolled: 1-line block ×3, first 2 shown]
	s_mov_b32 s0, 0xe8584caa
	s_mov_b32 s1, 0xbfebb67a
	;; [unrolled: 1-line block ×3, first 2 shown]
	s_waitcnt lgkmcnt(0)
	s_barrier
	buffer_gl0_inv
	v_fma_f64 v[28:29], v[96:97], v[12:13], v[28:29]
	v_mul_f64 v[12:13], v[98:99], v[12:13]
	v_fma_f64 v[20:21], v[88:89], v[232:233], v[20:21]
	v_fma_f64 v[24:25], v[92:93], v[228:229], v[24:25]
	v_fma_f64 v[22:23], v[88:89], v[234:235], -v[22:23]
	v_fma_f64 v[26:27], v[92:93], v[230:231], -v[26:27]
	;; [unrolled: 1-line block ×3, first 2 shown]
	v_mul_f64 v[14:15], v[102:103], v[10:11]
	s_delay_alu instid0(VALU_DEP_1) | instskip(SKIP_1) | instid1(VALU_DEP_1)
	v_fma_f64 v[14:15], v[100:101], v[8:9], v[14:15]
	v_mul_f64 v[8:9], v[102:103], v[8:9]
	v_fma_f64 v[30:31], v[100:101], v[10:11], -v[8:9]
	v_mul_f64 v[8:9], v[106:107], v[226:227]
	s_delay_alu instid0(VALU_DEP_1) | instskip(SKIP_1) | instid1(VALU_DEP_1)
	v_fma_f64 v[32:33], v[104:105], v[224:225], v[8:9]
	v_mul_f64 v[8:9], v[106:107], v[224:225]
	v_fma_f64 v[34:35], v[104:105], v[226:227], -v[8:9]
	;; [unrolled: 5-line block ×3, first 2 shown]
	v_mul_f64 v[8:9], v[114:115], v[6:7]
	s_delay_alu instid0(VALU_DEP_1) | instskip(SKIP_2) | instid1(VALU_DEP_2)
	v_fma_f64 v[40:41], v[112:113], v[4:5], v[8:9]
	v_mul_f64 v[4:5], v[114:115], v[4:5]
	v_add_f64 v[8:9], v[22:23], -v[26:27]
	v_fma_f64 v[42:43], v[112:113], v[6:7], -v[4:5]
	v_mul_f64 v[4:5], v[118:119], v[2:3]
	s_delay_alu instid0(VALU_DEP_1) | instskip(SKIP_2) | instid1(VALU_DEP_2)
	v_fma_f64 v[44:45], v[116:117], v[0:1], v[4:5]
	v_mul_f64 v[0:1], v[118:119], v[0:1]
	v_add_f64 v[4:5], v[216:217], v[20:21]
	v_fma_f64 v[46:47], v[116:117], v[2:3], -v[0:1]
	v_add_f64 v[0:1], v[20:21], v[24:25]
	v_add_f64 v[20:21], v[20:21], -v[24:25]
	s_delay_alu instid0(VALU_DEP_2) | instskip(SKIP_1) | instid1(VALU_DEP_1)
	v_fma_f64 v[6:7], v[0:1], -0.5, v[216:217]
	v_add_f64 v[0:1], v[22:23], v[26:27]
	v_fma_f64 v[10:11], v[0:1], -0.5, v[218:219]
	v_add_f64 v[0:1], v[218:219], v[22:23]
	s_delay_alu instid0(VALU_DEP_1)
	v_add_f64 v[2:3], v[0:1], v[26:27]
	v_add_f64 v[0:1], v[4:5], v[24:25]
	v_fma_f64 v[4:5], v[8:9], s[0:1], v[6:7]
	v_fma_f64 v[8:9], v[8:9], s[8:9], v[6:7]
	;; [unrolled: 1-line block ×4, first 2 shown]
	scratch_load_b32 v20, off, off offset:348 ; 4-byte Folded Reload
	v_add_f64 v[24:25], v[34:35], -v[38:39]
	s_waitcnt vmcnt(0)
	ds_store_b128 v20, v[0:3]
	ds_store_b128 v20, v[4:7] offset:192
	ds_store_b128 v20, v[8:11] offset:384
	v_add_f64 v[0:1], v[28:29], v[14:15]
	v_add_f64 v[4:5], v[84:85], v[28:29]
	v_add_f64 v[8:9], v[12:13], -v[30:31]
	v_add_f64 v[20:21], v[80:81], v[32:33]
	s_delay_alu instid0(VALU_DEP_4) | instskip(SKIP_1) | instid1(VALU_DEP_1)
	v_fma_f64 v[6:7], v[0:1], -0.5, v[84:85]
	v_add_f64 v[0:1], v[12:13], v[30:31]
	v_fma_f64 v[10:11], v[0:1], -0.5, v[86:87]
	v_add_f64 v[0:1], v[86:87], v[12:13]
	v_add_f64 v[12:13], v[28:29], -v[14:15]
	v_add_f64 v[28:29], v[32:33], -v[36:37]
	s_delay_alu instid0(VALU_DEP_3)
	v_add_f64 v[2:3], v[0:1], v[30:31]
	v_add_f64 v[0:1], v[4:5], v[14:15]
	v_fma_f64 v[4:5], v[8:9], s[0:1], v[6:7]
	v_fma_f64 v[8:9], v[8:9], s[8:9], v[6:7]
	;; [unrolled: 1-line block ×4, first 2 shown]
	v_add_f64 v[12:13], v[32:33], v[36:37]
	v_add_f64 v[32:33], v[76:77], v[40:41]
	s_delay_alu instid0(VALU_DEP_2) | instskip(SKIP_1) | instid1(VALU_DEP_1)
	v_fma_f64 v[22:23], v[12:13], -0.5, v[80:81]
	v_add_f64 v[12:13], v[34:35], v[38:39]
	v_fma_f64 v[26:27], v[12:13], -0.5, v[82:83]
	v_add_f64 v[12:13], v[82:83], v[34:35]
	s_delay_alu instid0(VALU_DEP_1)
	v_add_f64 v[14:15], v[12:13], v[38:39]
	v_add_f64 v[12:13], v[20:21], v[36:37]
	v_fma_f64 v[20:21], v[24:25], s[0:1], v[22:23]
	v_fma_f64 v[24:25], v[24:25], s[8:9], v[22:23]
	;; [unrolled: 1-line block ×4, first 2 shown]
	v_add_f64 v[28:29], v[40:41], v[44:45]
	v_add_f64 v[36:37], v[42:43], -v[46:47]
	v_add_f64 v[40:41], v[40:41], -v[44:45]
	s_delay_alu instid0(VALU_DEP_3) | instskip(SKIP_1) | instid1(VALU_DEP_1)
	v_fma_f64 v[34:35], v[28:29], -0.5, v[76:77]
	v_add_f64 v[28:29], v[42:43], v[46:47]
	v_fma_f64 v[38:39], v[28:29], -0.5, v[78:79]
	v_add_f64 v[28:29], v[78:79], v[42:43]
	s_delay_alu instid0(VALU_DEP_1)
	v_add_f64 v[30:31], v[28:29], v[46:47]
	v_add_f64 v[28:29], v[32:33], v[44:45]
	v_fma_f64 v[32:33], v[36:37], s[0:1], v[34:35]
	v_fma_f64 v[36:37], v[36:37], s[8:9], v[34:35]
	v_fma_f64 v[34:35], v[40:41], s[8:9], v[38:39]
	v_fma_f64 v[38:39], v[40:41], s[0:1], v[38:39]
	scratch_load_b32 v40, off, off offset:344 ; 4-byte Folded Reload
	s_waitcnt vmcnt(0)
	ds_store_b128 v40, v[0:3]
	ds_store_b128 v40, v[4:7] offset:192
	ds_store_b128 v40, v[8:11] offset:384
	scratch_load_b32 v0, off, off offset:340 ; 4-byte Folded Reload
	s_waitcnt vmcnt(0)
	ds_store_b128 v0, v[12:15]
	ds_store_b128 v0, v[20:23] offset:192
	ds_store_b128 v0, v[24:27] offset:384
	;; [unrolled: 5-line block ×3, first 2 shown]
	s_and_saveexec_b32 s10, vcc_lo
	s_cbranch_execz .LBB0_17
; %bb.16:
	s_clause 0x1
	scratch_load_b128 v[8:11], off, off offset:352
	scratch_load_b128 v[12:15], off, off offset:368
	s_waitcnt vmcnt(1)
	v_mul_f64 v[0:1], v[10:11], v[60:61]
	s_waitcnt vmcnt(0)
	v_mul_f64 v[2:3], v[14:15], v[64:65]
	v_mul_f64 v[4:5], v[10:11], v[62:63]
	;; [unrolled: 1-line block ×3, first 2 shown]
	s_delay_alu instid0(VALU_DEP_4) | instskip(NEXT) | instid1(VALU_DEP_4)
	v_fma_f64 v[0:1], v[8:9], v[62:63], -v[0:1]
	v_fma_f64 v[2:3], v[12:13], v[66:67], -v[2:3]
	s_delay_alu instid0(VALU_DEP_4) | instskip(NEXT) | instid1(VALU_DEP_4)
	v_fma_f64 v[4:5], v[8:9], v[60:61], v[4:5]
	v_fma_f64 v[6:7], v[12:13], v[64:65], v[6:7]
	s_delay_alu instid0(VALU_DEP_4) | instskip(NEXT) | instid1(VALU_DEP_4)
	v_add_f64 v[14:15], v[58:59], v[0:1]
	v_add_f64 v[8:9], v[0:1], v[2:3]
	v_add_f64 v[20:21], v[0:1], -v[2:3]
	s_delay_alu instid0(VALU_DEP_4)
	v_add_f64 v[10:11], v[4:5], v[6:7]
	v_add_f64 v[12:13], v[4:5], -v[6:7]
	v_add_f64 v[4:5], v[56:57], v[4:5]
	v_add_f64 v[2:3], v[14:15], v[2:3]
	v_fma_f64 v[8:9], v[8:9], -0.5, v[58:59]
	v_fma_f64 v[22:23], v[10:11], -0.5, v[56:57]
	s_delay_alu instid0(VALU_DEP_4) | instskip(NEXT) | instid1(VALU_DEP_3)
	v_add_f64 v[0:1], v[4:5], v[6:7]
	v_fma_f64 v[6:7], v[12:13], s[0:1], v[8:9]
	v_fma_f64 v[10:11], v[12:13], s[8:9], v[8:9]
	scratch_load_b32 v12, off, off offset:332 ; 4-byte Folded Reload
	v_fma_f64 v[8:9], v[20:21], s[0:1], v[22:23]
	v_fma_f64 v[4:5], v[20:21], s[8:9], v[22:23]
	s_waitcnt vmcnt(0)
	v_and_b32_e32 v12, 0xffff, v12
	s_delay_alu instid0(VALU_DEP_1)
	v_lshlrev_b32_e32 v12, 4, v12
	ds_store_b128 v12, v[0:3]
	ds_store_b128 v12, v[8:11] offset:192
	ds_store_b128 v12, v[4:7] offset:384
.LBB0_17:
	s_or_b32 exec_lo, exec_lo, s10
	s_waitcnt lgkmcnt(0)
	s_barrier
	buffer_gl0_inv
	ds_load_b128 v[0:3], v16 offset:4032
	ds_load_b128 v[4:7], v16 offset:8064
	;; [unrolled: 1-line block ×12, first 2 shown]
	s_mov_b32 s12, 0x37e14327
	s_mov_b32 s0, 0x36b3c0b5
	;; [unrolled: 1-line block ×9, first 2 shown]
	s_waitcnt lgkmcnt(11)
	v_mul_f64 v[44:45], v[122:123], v[2:3]
	v_mul_f64 v[46:47], v[122:123], v[0:1]
	s_waitcnt lgkmcnt(10)
	v_mul_f64 v[48:49], v[126:127], v[6:7]
	v_mul_f64 v[50:51], v[126:127], v[4:5]
	;; [unrolled: 3-line block ×9, first 2 shown]
	v_mul_f64 v[88:89], v[162:163], v[38:39]
	v_mul_f64 v[90:91], v[162:163], v[36:37]
	s_mov_b32 s14, 0x5476071b
	s_mov_b32 s22, 0xb247c609
	;; [unrolled: 1-line block ×11, first 2 shown]
	v_fma_f64 v[0:1], v[120:121], v[0:1], v[44:45]
	v_fma_f64 v[2:3], v[120:121], v[2:3], -v[46:47]
	v_fma_f64 v[4:5], v[124:125], v[4:5], v[48:49]
	v_fma_f64 v[6:7], v[124:125], v[6:7], -v[50:51]
	;; [unrolled: 2-line block ×4, first 2 shown]
	s_waitcnt lgkmcnt(1)
	v_mul_f64 v[44:45], v[158:159], v[58:59]
	v_mul_f64 v[46:47], v[158:159], v[56:57]
	s_waitcnt lgkmcnt(0)
	v_mul_f64 v[48:49], v[166:167], v[62:63]
	v_mul_f64 v[50:51], v[166:167], v[60:61]
	v_fma_f64 v[20:21], v[136:137], v[20:21], v[68:69]
	v_fma_f64 v[22:23], v[136:137], v[22:23], -v[70:71]
	v_fma_f64 v[24:25], v[140:141], v[24:25], v[72:73]
	v_fma_f64 v[26:27], v[140:141], v[26:27], -v[74:75]
	;; [unrolled: 2-line block ×6, first 2 shown]
	v_add_f64 v[52:53], v[0:1], v[8:9]
	v_add_f64 v[54:55], v[2:3], v[10:11]
	;; [unrolled: 1-line block ×4, first 2 shown]
	v_fma_f64 v[44:45], v[156:157], v[56:57], v[44:45]
	v_fma_f64 v[46:47], v[156:157], v[58:59], -v[46:47]
	v_fma_f64 v[48:49], v[164:165], v[60:61], v[48:49]
	v_fma_f64 v[50:51], v[164:165], v[62:63], -v[50:51]
	v_add_f64 v[12:13], v[4:5], -v[12:13]
	v_add_f64 v[14:15], v[6:7], -v[14:15]
	;; [unrolled: 1-line block ×4, first 2 shown]
	v_add_f64 v[56:57], v[20:21], v[28:29]
	v_add_f64 v[58:59], v[22:23], v[30:31]
	;; [unrolled: 1-line block ×4, first 2 shown]
	v_add_f64 v[24:25], v[24:25], -v[32:33]
	v_add_f64 v[26:27], v[26:27], -v[34:35]
	v_add_f64 v[68:69], v[40:41], v[36:37]
	v_add_f64 v[70:71], v[42:43], v[38:39]
	v_add_f64 v[36:37], v[36:37], -v[40:41]
	v_add_f64 v[38:39], v[38:39], -v[42:43]
	v_add_f64 v[20:21], v[20:21], -v[28:29]
	v_add_f64 v[22:23], v[22:23], -v[30:31]
	ds_load_b128 v[0:3], v16
	ds_load_b128 v[4:7], v16 offset:2016
	s_waitcnt lgkmcnt(0)
	s_barrier
	buffer_gl0_inv
	v_add_f64 v[40:41], v[64:65], v[52:53]
	v_add_f64 v[42:43], v[66:67], v[54:55]
	;; [unrolled: 1-line block ×4, first 2 shown]
	v_add_f64 v[44:45], v[48:49], -v[44:45]
	v_add_f64 v[46:47], v[50:51], -v[46:47]
	;; [unrolled: 1-line block ×4, first 2 shown]
	v_add_f64 v[28:29], v[60:61], v[56:57]
	v_add_f64 v[30:31], v[62:63], v[58:59]
	v_add_f64 v[48:49], v[52:53], -v[68:69]
	v_add_f64 v[50:51], v[54:55], -v[70:71]
	;; [unrolled: 1-line block ×10, first 2 shown]
	v_add_f64 v[12:13], v[36:37], v[12:13]
	v_add_f64 v[14:15], v[38:39], v[14:15]
	v_add_f64 v[36:37], v[8:9], -v[36:37]
	v_add_f64 v[38:39], v[10:11], -v[38:39]
	v_add_f64 v[40:41], v[68:69], v[40:41]
	v_add_f64 v[42:43], v[70:71], v[42:43]
	v_add_f64 v[68:69], v[56:57], -v[32:33]
	v_add_f64 v[70:71], v[58:59], -v[34:35]
	;; [unrolled: 1-line block ×4, first 2 shown]
	v_add_f64 v[24:25], v[44:45], v[24:25]
	v_add_f64 v[26:27], v[46:47], v[26:27]
	v_mul_f64 v[92:93], v[80:81], s[8:9]
	v_mul_f64 v[94:95], v[82:83], s[8:9]
	v_add_f64 v[28:29], v[32:33], v[28:29]
	v_add_f64 v[30:31], v[34:35], v[30:31]
	v_add_f64 v[32:33], v[32:33], -v[60:61]
	v_add_f64 v[34:35], v[34:35], -v[62:63]
	v_mul_f64 v[48:49], v[48:49], s[12:13]
	v_mul_f64 v[50:51], v[50:51], s[12:13]
	;; [unrolled: 1-line block ×6, first 2 shown]
	v_add_f64 v[44:45], v[20:21], -v[44:45]
	v_add_f64 v[46:47], v[22:23], -v[46:47]
	v_mul_f64 v[96:97], v[88:89], s[8:9]
	v_mul_f64 v[98:99], v[90:91], s[8:9]
	v_add_f64 v[56:57], v[60:61], -v[56:57]
	v_add_f64 v[58:59], v[62:63], -v[58:59]
	v_add_f64 v[8:9], v[12:13], v[8:9]
	v_add_f64 v[10:11], v[14:15], v[10:11]
	;; [unrolled: 1-line block ×4, first 2 shown]
	v_mul_f64 v[68:69], v[68:69], s[12:13]
	v_mul_f64 v[70:71], v[70:71], s[12:13]
	;; [unrolled: 1-line block ×4, first 2 shown]
	v_add_f64 v[12:13], v[24:25], v[20:21]
	v_add_f64 v[14:15], v[26:27], v[22:23]
	;; [unrolled: 1-line block ×4, first 2 shown]
	v_mul_f64 v[60:61], v[32:33], s[0:1]
	v_mul_f64 v[62:63], v[34:35], s[0:1]
	v_fma_f64 v[20:21], v[72:73], s[0:1], v[48:49]
	v_fma_f64 v[22:23], v[74:75], s[0:1], v[50:51]
	v_fma_f64 v[24:25], v[52:53], s[14:15], -v[64:65]
	v_fma_f64 v[26:27], v[54:55], s[14:15], -v[66:67]
	v_fma_f64 v[64:65], v[36:37], s[22:23], v[76:77]
	v_fma_f64 v[66:67], v[38:39], s[22:23], v[78:79]
	v_fma_f64 v[72:73], v[80:81], s[8:9], -v[76:77]
	v_fma_f64 v[74:75], v[82:83], s[8:9], -v[78:79]
	;; [unrolled: 1-line block ×6, first 2 shown]
	v_fma_f64 v[40:41], v[40:41], s[10:11], v[0:1]
	v_fma_f64 v[42:43], v[42:43], s[10:11], v[2:3]
	;; [unrolled: 1-line block ×6, first 2 shown]
	v_fma_f64 v[44:45], v[44:45], s[20:21], -v[96:97]
	v_fma_f64 v[46:47], v[46:47], s[20:21], -v[98:99]
	;; [unrolled: 1-line block ×4, first 2 shown]
	v_fma_f64 v[28:29], v[28:29], s[10:11], v[4:5]
	v_fma_f64 v[30:31], v[30:31], s[10:11], v[6:7]
	v_fma_f64 v[76:77], v[88:89], s[8:9], -v[84:85]
	v_fma_f64 v[78:79], v[90:91], s[8:9], -v[86:87]
	;; [unrolled: 1-line block ×4, first 2 shown]
	v_fma_f64 v[60:61], v[8:9], s[24:25], v[64:65]
	v_fma_f64 v[62:63], v[10:11], s[24:25], v[66:67]
	v_fma_f64 v[64:65], v[8:9], s[24:25], v[72:73]
	v_fma_f64 v[66:67], v[10:11], s[24:25], v[74:75]
	v_fma_f64 v[36:37], v[8:9], s[24:25], v[36:37]
	v_fma_f64 v[38:39], v[10:11], s[24:25], v[38:39]
	v_add_f64 v[72:73], v[20:21], v[40:41]
	v_add_f64 v[74:75], v[22:23], v[42:43]
	;; [unrolled: 1-line block ×6, first 2 shown]
	v_fma_f64 v[52:53], v[12:13], s[24:25], v[52:53]
	v_fma_f64 v[54:55], v[14:15], s[24:25], v[54:55]
	;; [unrolled: 1-line block ×4, first 2 shown]
	v_add_f64 v[80:81], v[32:33], v[28:29]
	v_add_f64 v[82:83], v[34:35], v[30:31]
	;; [unrolled: 1-line block ×4, first 2 shown]
	v_fma_f64 v[76:77], v[12:13], s[24:25], v[76:77]
	v_fma_f64 v[78:79], v[14:15], s[24:25], v[78:79]
	v_add_f64 v[84:85], v[56:57], v[28:29]
	v_add_f64 v[86:87], v[58:59], v[30:31]
	;; [unrolled: 1-line block ×3, first 2 shown]
	v_add_f64 v[10:11], v[74:75], -v[60:61]
	v_add_f64 v[12:13], v[38:39], v[48:49]
	v_add_f64 v[14:15], v[50:51], -v[36:37]
	v_add_f64 v[20:21], v[24:25], -v[66:67]
	v_add_f64 v[22:23], v[64:65], v[26:27]
	v_add_f64 v[24:25], v[66:67], v[24:25]
	v_add_f64 v[26:27], v[26:27], -v[64:65]
	v_add_f64 v[28:29], v[48:49], -v[38:39]
	v_add_f64 v[30:31], v[36:37], v[50:51]
	v_add_f64 v[32:33], v[72:73], -v[62:63]
	v_add_f64 v[34:35], v[60:61], v[74:75]
	v_add_f64 v[36:37], v[54:55], v[80:81]
	v_add_f64 v[38:39], v[82:83], -v[52:53]
	v_add_f64 v[40:41], v[46:47], v[68:69]
	v_add_f64 v[42:43], v[70:71], -v[44:45]
	v_add_f64 v[64:65], v[68:69], -v[46:47]
	v_add_f64 v[66:67], v[44:45], v[70:71]
	v_add_f64 v[56:57], v[84:85], -v[78:79]
	v_add_f64 v[58:59], v[76:77], v[86:87]
	v_add_f64 v[60:61], v[78:79], v[84:85]
	v_add_f64 v[62:63], v[86:87], -v[76:77]
	v_add_f64 v[68:69], v[80:81], -v[54:55]
	v_add_f64 v[70:71], v[52:53], v[82:83]
	ds_store_b128 v19, v[0:3]
	ds_store_b128 v19, v[8:11] offset:576
	ds_store_b128 v19, v[12:15] offset:1152
	;; [unrolled: 1-line block ×6, first 2 shown]
	ds_store_b128 v18, v[4:7]
	ds_store_b128 v18, v[36:39] offset:576
	ds_store_b128 v18, v[40:43] offset:1152
	;; [unrolled: 1-line block ×6, first 2 shown]
	s_waitcnt lgkmcnt(0)
	s_barrier
	buffer_gl0_inv
	ds_load_b128 v[0:3], v16 offset:4032
	ds_load_b128 v[4:7], v16 offset:8064
	;; [unrolled: 1-line block ×12, first 2 shown]
	s_waitcnt lgkmcnt(11)
	v_mul_f64 v[42:43], v[170:171], v[2:3]
	s_waitcnt lgkmcnt(10)
	v_mul_f64 v[46:47], v[174:175], v[6:7]
	;; [unrolled: 2-line block ×4, first 2 shown]
	v_mul_f64 v[44:45], v[170:171], v[0:1]
	v_mul_f64 v[48:49], v[174:175], v[4:5]
	;; [unrolled: 1-line block ×4, first 2 shown]
	s_waitcnt lgkmcnt(3)
	v_mul_f64 v[86:87], v[210:211], v[36:37]
	s_waitcnt lgkmcnt(2)
	v_mul_f64 v[82:83], v[202:203], v[40:41]
	v_mul_f64 v[66:67], v[186:187], v[20:21]
	;; [unrolled: 1-line block ×11, first 2 shown]
	v_fma_f64 v[0:1], v[168:169], v[0:1], v[42:43]
	v_fma_f64 v[4:5], v[172:173], v[4:5], v[46:47]
	;; [unrolled: 1-line block ×4, first 2 shown]
	s_waitcnt lgkmcnt(1)
	v_mul_f64 v[42:43], v[206:207], v[58:59]
	s_waitcnt lgkmcnt(0)
	v_mul_f64 v[46:47], v[214:215], v[62:63]
	v_fma_f64 v[2:3], v[168:169], v[2:3], -v[44:45]
	v_fma_f64 v[6:7], v[172:173], v[6:7], -v[48:49]
	v_fma_f64 v[34:35], v[208:209], v[34:35], v[86:87]
	v_fma_f64 v[38:39], v[200:201], v[38:39], v[82:83]
	;; [unrolled: 1-line block ×6, first 2 shown]
	v_fma_f64 v[10:11], v[176:177], v[10:11], -v[52:53]
	v_fma_f64 v[14:15], v[180:181], v[14:15], -v[64:65]
	v_mul_f64 v[44:45], v[206:207], v[56:57]
	v_mul_f64 v[48:49], v[214:215], v[60:61]
	v_fma_f64 v[20:21], v[184:185], v[20:21], -v[68:69]
	v_fma_f64 v[24:25], v[188:189], v[24:25], -v[72:73]
	;; [unrolled: 1-line block ×6, first 2 shown]
	v_add_f64 v[50:51], v[0:1], v[8:9]
	v_add_f64 v[54:55], v[4:5], v[12:13]
	v_fma_f64 v[42:43], v[204:205], v[56:57], v[42:43]
	v_fma_f64 v[46:47], v[212:213], v[60:61], v[46:47]
	v_add_f64 v[12:13], v[4:5], -v[12:13]
	v_add_f64 v[8:9], v[0:1], -v[8:9]
	v_add_f64 v[66:67], v[38:39], v[34:35]
	v_add_f64 v[34:35], v[34:35], -v[38:39]
	v_add_f64 v[56:57], v[18:19], v[26:27]
	v_add_f64 v[60:61], v[22:23], v[30:31]
	v_add_f64 v[22:23], v[22:23], -v[30:31]
	v_add_f64 v[18:19], v[18:19], -v[26:27]
	v_add_f64 v[52:53], v[2:3], v[10:11]
	v_add_f64 v[64:65], v[6:7], v[14:15]
	v_fma_f64 v[44:45], v[204:205], v[58:59], -v[44:45]
	v_fma_f64 v[48:49], v[212:213], v[62:63], -v[48:49]
	v_add_f64 v[58:59], v[20:21], v[28:29]
	v_add_f64 v[62:63], v[24:25], v[32:33]
	v_add_f64 v[14:15], v[6:7], -v[14:15]
	v_add_f64 v[68:69], v[40:41], v[36:37]
	v_add_f64 v[10:11], v[2:3], -v[10:11]
	v_add_f64 v[20:21], v[20:21], -v[28:29]
	;; [unrolled: 1-line block ×4, first 2 shown]
	v_add_f64 v[0:1], v[54:55], v[50:51]
	v_add_f64 v[4:5], v[42:43], v[46:47]
	v_add_f64 v[30:31], v[46:47], -v[42:43]
	v_add_f64 v[70:71], v[12:13], -v[8:9]
	;; [unrolled: 1-line block ×5, first 2 shown]
	v_add_f64 v[12:13], v[34:35], v[12:13]
	v_add_f64 v[34:35], v[8:9], -v[34:35]
	v_add_f64 v[26:27], v[60:61], v[56:57]
	v_add_f64 v[82:83], v[22:23], -v[18:19]
	v_add_f64 v[50:51], v[54:55], -v[50:51]
	v_add_f64 v[2:3], v[64:65], v[52:53]
	v_add_f64 v[6:7], v[44:45], v[48:49]
	v_add_f64 v[32:33], v[48:49], -v[44:45]
	v_add_f64 v[28:29], v[62:63], v[58:59]
	v_add_f64 v[40:41], v[52:53], -v[68:69]
	v_add_f64 v[44:45], v[68:69], -v[64:65]
	;; [unrolled: 1-line block ×6, first 2 shown]
	v_add_f64 v[14:15], v[36:37], v[14:15]
	v_add_f64 v[36:37], v[10:11], -v[36:37]
	v_add_f64 v[66:67], v[66:67], v[0:1]
	v_add_f64 v[74:75], v[56:57], -v[4:5]
	v_add_f64 v[78:79], v[30:31], -v[22:23]
	v_add_f64 v[22:23], v[30:31], v[22:23]
	v_mul_f64 v[90:91], v[70:71], s[8:9]
	v_mul_f64 v[38:39], v[38:39], s[12:13]
	;; [unrolled: 1-line block ×4, first 2 shown]
	v_add_f64 v[30:31], v[18:19], -v[30:31]
	v_add_f64 v[8:9], v[12:13], v[8:9]
	v_add_f64 v[26:27], v[4:5], v[26:27]
	v_add_f64 v[86:87], v[4:5], -v[60:61]
	v_mul_f64 v[94:95], v[82:83], s[8:9]
	v_add_f64 v[68:69], v[68:69], v[2:3]
	v_add_f64 v[56:57], v[60:61], -v[56:57]
	v_add_f64 v[76:77], v[58:59], -v[6:7]
	;; [unrolled: 1-line block ×3, first 2 shown]
	v_add_f64 v[28:29], v[6:7], v[28:29]
	ds_load_b128 v[0:3], v16
	ds_load_b128 v[4:7], v16 offset:2016
	v_add_f64 v[80:81], v[32:33], -v[24:25]
	v_add_f64 v[24:25], v[32:33], v[24:25]
	v_mul_f64 v[40:41], v[40:41], s[12:13]
	v_mul_f64 v[64:65], v[44:45], s[0:1]
	v_mul_f64 v[48:49], v[48:49], s[16:17]
	v_mul_f64 v[92:93], v[72:73], s[8:9]
	v_add_f64 v[32:33], v[20:21], -v[32:33]
	v_mul_f64 v[96:97], v[84:85], s[8:9]
	v_add_f64 v[58:59], v[62:63], -v[58:59]
	v_add_f64 v[10:11], v[14:15], v[10:11]
	s_waitcnt lgkmcnt(1)
	v_add_f64 v[0:1], v[0:1], v[66:67]
	v_mul_f64 v[74:75], v[74:75], s[12:13]
	v_mul_f64 v[78:79], v[78:79], s[16:17]
	v_add_f64 v[12:13], v[22:23], v[18:19]
	v_fma_f64 v[18:19], v[42:43], s[0:1], v[38:39]
	v_fma_f64 v[42:43], v[34:35], s[22:23], v[46:47]
	v_fma_f64 v[46:47], v[70:71], s[8:9], -v[46:47]
	v_fma_f64 v[34:35], v[34:35], s[20:21], -v[90:91]
	;; [unrolled: 1-line block ×3, first 2 shown]
	s_waitcnt lgkmcnt(0)
	v_add_f64 v[4:5], v[4:5], v[26:27]
	v_mul_f64 v[60:61], v[86:87], s[0:1]
	v_fma_f64 v[38:39], v[50:51], s[18:19], -v[38:39]
	v_add_f64 v[2:3], v[2:3], v[68:69]
	v_mul_f64 v[76:77], v[76:77], s[12:13]
	v_mul_f64 v[62:63], v[88:89], s[0:1]
	v_add_f64 v[6:7], v[6:7], v[28:29]
	v_mul_f64 v[80:81], v[80:81], s[16:17]
	v_add_f64 v[14:15], v[24:25], v[20:21]
	v_fma_f64 v[20:21], v[44:45], s[0:1], v[40:41]
	v_fma_f64 v[24:25], v[52:53], s[14:15], -v[64:65]
	v_fma_f64 v[44:45], v[36:37], s[22:23], v[48:49]
	v_fma_f64 v[36:37], v[36:37], s[20:21], -v[92:93]
	v_fma_f64 v[40:41], v[52:53], s[18:19], -v[40:41]
	;; [unrolled: 1-line block ×3, first 2 shown]
	v_fma_f64 v[54:55], v[66:67], s[10:11], v[0:1]
	v_fma_f64 v[50:51], v[86:87], s[0:1], v[74:75]
	;; [unrolled: 1-line block ×3, first 2 shown]
	v_fma_f64 v[70:71], v[82:83], s[8:9], -v[78:79]
	v_fma_f64 v[30:31], v[30:31], s[20:21], -v[94:95]
	;; [unrolled: 1-line block ×3, first 2 shown]
	v_fma_f64 v[42:43], v[8:9], s[24:25], v[42:43]
	v_fma_f64 v[46:47], v[8:9], s[24:25], v[46:47]
	;; [unrolled: 1-line block ×3, first 2 shown]
	scratch_load_b64 v[8:9], off, off offset:48 ; 8-byte Folded Reload
	v_fma_f64 v[26:27], v[26:27], s[10:11], v[4:5]
	v_fma_f64 v[56:57], v[56:57], s[14:15], -v[60:61]
	v_fma_f64 v[64:65], v[68:69], s[10:11], v[2:3]
	v_fma_f64 v[52:53], v[88:89], s[0:1], v[76:77]
	v_fma_f64 v[76:77], v[58:59], s[18:19], -v[76:77]
	v_fma_f64 v[28:29], v[28:29], s[10:11], v[6:7]
	v_fma_f64 v[58:59], v[58:59], s[14:15], -v[62:63]
	;; [unrolled: 2-line block ×3, first 2 shown]
	v_fma_f64 v[32:33], v[32:33], s[20:21], -v[96:97]
	v_mad_u64_u32 v[84:85], null, s4, v17, 0
	v_fma_f64 v[44:45], v[10:11], s[24:25], v[44:45]
	v_fma_f64 v[36:37], v[10:11], s[24:25], v[36:37]
	;; [unrolled: 1-line block ×3, first 2 shown]
	s_mul_i32 s1, s5, 0x3720
	s_mul_i32 s0, s4, 0x3720
	s_mul_hi_u32 s8, s4, 0xffffd0c0
	s_waitcnt vmcnt(0)
	v_mov_b32_e32 v9, v85
	v_add_f64 v[60:61], v[18:19], v[54:55]
	v_add_f64 v[38:39], v[38:39], v[54:55]
	;; [unrolled: 1-line block ×8, first 2 shown]
	v_fma_f64 v[54:55], v[12:13], s[24:25], v[66:67]
	v_add_f64 v[52:53], v[52:53], v[28:29]
	v_add_f64 v[23:24], v[24:25], v[64:65]
	v_fma_f64 v[68:69], v[14:15], s[24:25], v[68:69]
	v_fma_f64 v[64:65], v[12:13], s[24:25], v[70:71]
	;; [unrolled: 1-line block ×5, first 2 shown]
	v_add_f64 v[76:77], v[76:77], v[28:29]
	v_add_f64 v[80:81], v[58:59], v[28:29]
	v_add_f64 v[29:30], v[60:61], -v[44:45]
	v_add_f64 v[12:13], v[36:37], v[38:39]
	v_add_f64 v[25:26], v[38:39], -v[36:37]
	v_add_f64 v[31:32], v[42:43], v[62:63]
	v_add_f64 v[14:15], v[40:41], -v[34:35]
	v_add_f64 v[27:28], v[34:35], v[40:41]
	v_add_f64 v[35:36], v[52:53], -v[54:55]
	v_add_f64 v[19:20], v[46:47], v[23:24]
	v_add_f64 v[33:34], v[68:69], v[50:51]
	v_add_f64 v[23:24], v[23:24], -v[46:47]
	v_add_f64 v[56:57], v[78:79], -v[66:67]
	;; [unrolled: 1-line block ×3, first 2 shown]
	v_add_f64 v[37:38], v[72:73], v[74:75]
	v_add_f64 v[39:40], v[76:77], -v[70:71]
	v_add_f64 v[58:59], v[64:65], v[80:81]
	v_mov_b32_e32 v10, v8
	s_delay_alu instid0(VALU_DEP_1) | instskip(SKIP_1) | instid1(SALU_CYCLE_1)
	v_mad_u64_u32 v[82:83], null, s6, v10, 0
	s_mul_hi_u32 s6, s4, 0x3720
	s_add_i32 s1, s6, s1
	s_delay_alu instid0(VALU_DEP_1) | instskip(NEXT) | instid1(VALU_DEP_1)
	v_mov_b32_e32 v8, v83
	v_mad_u64_u32 v[85:86], null, s7, v10, v[8:9]
	v_mad_u64_u32 v[86:87], null, s5, v17, v[9:10]
	v_add_f64 v[8:9], v[44:45], v[60:61]
	v_add_f64 v[10:11], v[62:63], -v[42:43]
	v_add_f64 v[17:18], v[21:22], -v[48:49]
	v_add_f64 v[21:22], v[48:49], v[21:22]
	v_mov_b32_e32 v83, v85
	v_add_f64 v[60:61], v[66:67], v[78:79]
	v_add_f64 v[62:63], v[80:81], -v[64:65]
	v_add_f64 v[64:65], v[74:75], -v[72:73]
	v_add_f64 v[66:67], v[70:71], v[76:77]
	v_add_f64 v[70:71], v[54:55], v[52:53]
	ds_store_b128 v16, v[0:3]
	ds_store_b128 v16, v[4:7] offset:2016
	ds_store_b128 v16, v[8:11] offset:4032
	;; [unrolled: 1-line block ×13, first 2 shown]
	s_waitcnt lgkmcnt(0)
	s_barrier
	buffer_gl0_inv
	ds_load_b128 v[0:3], v16
	ds_load_b128 v[4:7], v16 offset:14112
	ds_load_b128 v[8:11], v16 offset:2016
	;; [unrolled: 1-line block ×13, first 2 shown]
	s_clause 0x1
	scratch_load_b128 v[128:131], off, off
	scratch_load_b128 v[140:143], off, off offset:88
	v_mov_b32_e32 v85, v86
	v_lshlrev_b64 v[41:42], 4, v[82:83]
	s_clause 0x2
	scratch_load_b128 v[146:149], off, off offset:120
	scratch_load_b128 v[150:153], off, off offset:136
	;; [unrolled: 1-line block ×3, first 2 shown]
	v_lshlrev_b64 v[43:44], 4, v[84:85]
	s_mul_i32 s7, s5, 0xffffd0c0
	v_add_co_u32 v41, vcc_lo, s2, v41
	v_add_co_ci_u32_e32 v42, vcc_lo, s3, v42, vcc_lo
	s_mul_i32 s5, s4, 0xffffd0c0
	s_delay_alu instid0(VALU_DEP_2) | instskip(NEXT) | instid1(VALU_DEP_2)
	v_add_co_u32 v72, vcc_lo, v41, v43
	v_add_co_ci_u32_e32 v73, vcc_lo, v42, v44, vcc_lo
	s_sub_i32 s2, s8, s4
	s_delay_alu instid0(VALU_DEP_2) | instskip(NEXT) | instid1(VALU_DEP_2)
	v_add_co_u32 v74, vcc_lo, v72, s0
	v_add_co_ci_u32_e32 v75, vcc_lo, s1, v73, vcc_lo
	s_add_i32 s2, s2, s7
	s_delay_alu instid0(VALU_DEP_2) | instskip(NEXT) | instid1(VALU_DEP_2)
	v_add_co_u32 v76, vcc_lo, v74, s5
	v_add_co_ci_u32_e32 v77, vcc_lo, s2, v75, vcc_lo
	s_mov_b32 s6, 0x5bb804a5
	s_delay_alu instid0(VALU_DEP_2) | instskip(NEXT) | instid1(VALU_DEP_2)
	v_add_co_u32 v78, vcc_lo, v76, s0
	v_add_co_ci_u32_e32 v79, vcc_lo, s1, v77, vcc_lo
	s_mov_b32 s7, 0x3f429372
	s_delay_alu instid0(VALU_DEP_2) | instskip(NEXT) | instid1(VALU_DEP_2)
	v_add_co_u32 v122, vcc_lo, v78, s5
	v_add_co_ci_u32_e32 v123, vcc_lo, s2, v79, vcc_lo
	s_delay_alu instid0(VALU_DEP_2) | instskip(NEXT) | instid1(VALU_DEP_2)
	v_add_co_u32 v124, vcc_lo, v122, s0
	v_add_co_ci_u32_e32 v125, vcc_lo, s1, v123, vcc_lo
	;; [unrolled: 3-line block ×3, first 2 shown]
	s_waitcnt vmcnt(4) lgkmcnt(13)
	v_mul_f64 v[41:42], v[130:131], v[2:3]
	v_mul_f64 v[43:44], v[130:131], v[0:1]
	scratch_load_b128 v[130:133], off, off offset:16 ; 16-byte Folded Reload
	s_waitcnt vmcnt(4) lgkmcnt(8)
	v_mul_f64 v[86:87], v[142:143], v[23:24]
	v_mul_f64 v[88:89], v[142:143], v[21:22]
	scratch_load_b128 v[142:145], off, off offset:104 ; 16-byte Folded Reload
	v_fma_f64 v[0:1], v[128:129], v[0:1], v[41:42]
	v_fma_f64 v[2:3], v[128:129], v[2:3], -v[43:44]
	s_delay_alu instid0(VALU_DEP_2) | instskip(NEXT) | instid1(VALU_DEP_2)
	v_mul_f64 v[0:1], v[0:1], s[6:7]
	v_mul_f64 v[2:3], v[2:3], s[6:7]
	s_waitcnt vmcnt(1)
	v_mul_f64 v[49:50], v[132:133], v[10:11]
	v_mul_f64 v[51:52], v[132:133], v[8:9]
	scratch_load_b128 v[132:135], off, off offset:32 ; 16-byte Folded Reload
	v_mul_f64 v[53:54], v[148:149], v[19:20]
	v_mul_f64 v[80:81], v[148:149], v[17:18]
	s_waitcnt vmcnt(1) lgkmcnt(7)
	v_mul_f64 v[90:91], v[144:145], v[27:28]
	v_mul_f64 v[92:93], v[144:145], v[25:26]
	v_fma_f64 v[8:9], v[130:131], v[8:9], v[49:50]
	v_fma_f64 v[10:11], v[130:131], v[10:11], -v[51:52]
	v_fma_f64 v[16:17], v[146:147], v[17:18], v[53:54]
	v_fma_f64 v[18:19], v[146:147], v[19:20], -v[80:81]
	;; [unrolled: 2-line block ×4, first 2 shown]
	v_mul_f64 v[8:9], v[8:9], s[6:7]
	v_mul_f64 v[10:11], v[10:11], s[6:7]
	;; [unrolled: 1-line block ×6, first 2 shown]
	s_waitcnt vmcnt(0)
	v_mul_f64 v[82:83], v[134:135], v[14:15]
	v_mul_f64 v[84:85], v[134:135], v[12:13]
	scratch_load_b128 v[134:137], off, off offset:56 ; 16-byte Folded Reload
	v_mul_f64 v[45:46], v[152:153], v[6:7]
	v_mul_f64 v[47:48], v[152:153], v[4:5]
	scratch_load_b128 v[152:155], off, off offset:152 ; 16-byte Folded Reload
	v_fma_f64 v[41:42], v[132:133], v[12:13], v[82:83]
	v_fma_f64 v[43:44], v[132:133], v[14:15], -v[84:85]
	v_mul_f64 v[12:13], v[16:17], s[6:7]
	v_fma_f64 v[4:5], v[150:151], v[4:5], v[45:46]
	v_fma_f64 v[6:7], v[150:151], v[6:7], -v[47:48]
	v_mul_f64 v[14:15], v[18:19], s[6:7]
	v_mul_f64 v[16:17], v[41:42], s[6:7]
	;; [unrolled: 1-line block ×5, first 2 shown]
	s_waitcnt vmcnt(1) lgkmcnt(6)
	v_mul_f64 v[94:95], v[136:137], v[31:32]
	v_mul_f64 v[96:97], v[136:137], v[29:30]
	scratch_load_b128 v[136:139], off, off offset:72 ; 16-byte Folded Reload
	s_waitcnt vmcnt(1) lgkmcnt(3)
	v_mul_f64 v[106:107], v[154:155], v[58:59]
	v_mul_f64 v[108:109], v[154:155], v[56:57]
	scratch_load_b128 v[154:157], off, off offset:168 ; 16-byte Folded Reload
	v_mul_f64 v[102:103], v[160:161], v[35:36]
	v_mul_f64 v[104:105], v[160:161], v[33:34]
	scratch_load_b128 v[160:163], off, off offset:200 ; 16-byte Folded Reload
	v_fma_f64 v[28:29], v[134:135], v[29:30], v[94:95]
	v_fma_f64 v[30:31], v[134:135], v[31:32], -v[96:97]
	v_fma_f64 v[49:50], v[152:153], v[56:57], v[106:107]
	v_fma_f64 v[51:52], v[152:153], v[58:59], -v[108:109]
	;; [unrolled: 2-line block ×3, first 2 shown]
	v_mul_f64 v[28:29], v[28:29], s[6:7]
	v_mul_f64 v[30:31], v[30:31], s[6:7]
	;; [unrolled: 1-line block ×3, first 2 shown]
	s_waitcnt vmcnt(2)
	v_mul_f64 v[98:99], v[138:139], v[39:40]
	v_mul_f64 v[100:101], v[138:139], v[37:38]
	s_waitcnt vmcnt(1) lgkmcnt(1)
	v_mul_f64 v[110:111], v[156:157], v[66:67]
	v_mul_f64 v[112:113], v[156:157], v[64:65]
	s_waitcnt vmcnt(0)
	v_mul_f64 v[114:115], v[162:163], v[62:63]
	v_mul_f64 v[116:117], v[162:163], v[60:61]
	scratch_load_b128 v[162:165], off, off offset:216 ; 16-byte Folded Reload
	v_fma_f64 v[37:38], v[136:137], v[37:38], v[98:99]
	v_fma_f64 v[39:40], v[136:137], v[39:40], -v[100:101]
	v_fma_f64 v[53:54], v[154:155], v[64:65], v[110:111]
	v_fma_f64 v[55:56], v[154:155], v[66:67], -v[112:113]
	v_add_co_u32 v65, vcc_lo, v126, s0
	v_fma_f64 v[57:58], v[160:161], v[60:61], v[114:115]
	v_fma_f64 v[59:60], v[160:161], v[62:63], -v[116:117]
	v_add_co_ci_u32_e32 v66, vcc_lo, s1, v127, vcc_lo
	s_delay_alu instid0(VALU_DEP_4)
	v_add_co_u32 v67, vcc_lo, v65, s5
	v_mul_f64 v[32:33], v[37:38], s[6:7]
	v_mul_f64 v[34:35], v[39:40], s[6:7]
	;; [unrolled: 1-line block ×9, first 2 shown]
	s_waitcnt vmcnt(0) lgkmcnt(0)
	v_mul_f64 v[118:119], v[164:165], v[70:71]
	v_mul_f64 v[120:121], v[164:165], v[68:69]
	s_delay_alu instid0(VALU_DEP_2) | instskip(NEXT) | instid1(VALU_DEP_2)
	v_fma_f64 v[61:62], v[162:163], v[68:69], v[118:119]
	v_fma_f64 v[63:64], v[162:163], v[70:71], -v[120:121]
	v_add_co_ci_u32_e32 v68, vcc_lo, s2, v66, vcc_lo
	v_add_co_u32 v56, vcc_lo, v67, s0
	s_delay_alu instid0(VALU_DEP_2) | instskip(NEXT) | instid1(VALU_DEP_2)
	v_add_co_ci_u32_e32 v57, vcc_lo, s1, v68, vcc_lo
	v_add_co_u32 v58, vcc_lo, v56, s5
	s_delay_alu instid0(VALU_DEP_2) | instskip(NEXT) | instid1(VALU_DEP_2)
	v_add_co_ci_u32_e32 v59, vcc_lo, s2, v57, vcc_lo
	v_add_co_u32 v60, vcc_lo, v58, s0
	v_mul_f64 v[52:53], v[61:62], s[6:7]
	v_mul_f64 v[54:55], v[63:64], s[6:7]
	s_delay_alu instid0(VALU_DEP_4) | instskip(NEXT) | instid1(VALU_DEP_4)
	v_add_co_ci_u32_e32 v61, vcc_lo, s1, v59, vcc_lo
	v_add_co_u32 v62, vcc_lo, v60, s5
	s_delay_alu instid0(VALU_DEP_2) | instskip(NEXT) | instid1(VALU_DEP_2)
	v_add_co_ci_u32_e32 v63, vcc_lo, s2, v61, vcc_lo
	v_add_co_u32 v69, vcc_lo, v62, s0
	s_delay_alu instid0(VALU_DEP_2)
	v_add_co_ci_u32_e32 v70, vcc_lo, s1, v63, vcc_lo
	s_clause 0x4
	global_store_b128 v[72:73], v[0:3], off
	global_store_b128 v[74:75], v[4:7], off
	;; [unrolled: 1-line block ×14, first 2 shown]
.LBB0_18:
	s_nop 0
	s_sendmsg sendmsg(MSG_DEALLOC_VGPRS)
	s_endpgm
	.section	.rodata,"a",@progbits
	.p2align	6, 0x0
	.amdhsa_kernel bluestein_single_back_len1764_dim1_dp_op_CI_CI
		.amdhsa_group_segment_fixed_size 28224
		.amdhsa_private_segment_fixed_size 392
		.amdhsa_kernarg_size 104
		.amdhsa_user_sgpr_count 15
		.amdhsa_user_sgpr_dispatch_ptr 0
		.amdhsa_user_sgpr_queue_ptr 0
		.amdhsa_user_sgpr_kernarg_segment_ptr 1
		.amdhsa_user_sgpr_dispatch_id 0
		.amdhsa_user_sgpr_private_segment_size 0
		.amdhsa_wavefront_size32 1
		.amdhsa_uses_dynamic_stack 0
		.amdhsa_enable_private_segment 1
		.amdhsa_system_sgpr_workgroup_id_x 1
		.amdhsa_system_sgpr_workgroup_id_y 0
		.amdhsa_system_sgpr_workgroup_id_z 0
		.amdhsa_system_sgpr_workgroup_info 0
		.amdhsa_system_vgpr_workitem_id 0
		.amdhsa_next_free_vgpr 256
		.amdhsa_next_free_sgpr 32
		.amdhsa_reserve_vcc 1
		.amdhsa_float_round_mode_32 0
		.amdhsa_float_round_mode_16_64 0
		.amdhsa_float_denorm_mode_32 3
		.amdhsa_float_denorm_mode_16_64 3
		.amdhsa_dx10_clamp 1
		.amdhsa_ieee_mode 1
		.amdhsa_fp16_overflow 0
		.amdhsa_workgroup_processor_mode 1
		.amdhsa_memory_ordered 1
		.amdhsa_forward_progress 0
		.amdhsa_shared_vgpr_count 0
		.amdhsa_exception_fp_ieee_invalid_op 0
		.amdhsa_exception_fp_denorm_src 0
		.amdhsa_exception_fp_ieee_div_zero 0
		.amdhsa_exception_fp_ieee_overflow 0
		.amdhsa_exception_fp_ieee_underflow 0
		.amdhsa_exception_fp_ieee_inexact 0
		.amdhsa_exception_int_div_zero 0
	.end_amdhsa_kernel
	.text
.Lfunc_end0:
	.size	bluestein_single_back_len1764_dim1_dp_op_CI_CI, .Lfunc_end0-bluestein_single_back_len1764_dim1_dp_op_CI_CI
                                        ; -- End function
	.section	.AMDGPU.csdata,"",@progbits
; Kernel info:
; codeLenInByte = 22352
; NumSgprs: 34
; NumVgprs: 256
; ScratchSize: 392
; MemoryBound: 0
; FloatMode: 240
; IeeeMode: 1
; LDSByteSize: 28224 bytes/workgroup (compile time only)
; SGPRBlocks: 4
; VGPRBlocks: 31
; NumSGPRsForWavesPerEU: 34
; NumVGPRsForWavesPerEU: 256
; Occupancy: 4
; WaveLimiterHint : 1
; COMPUTE_PGM_RSRC2:SCRATCH_EN: 1
; COMPUTE_PGM_RSRC2:USER_SGPR: 15
; COMPUTE_PGM_RSRC2:TRAP_HANDLER: 0
; COMPUTE_PGM_RSRC2:TGID_X_EN: 1
; COMPUTE_PGM_RSRC2:TGID_Y_EN: 0
; COMPUTE_PGM_RSRC2:TGID_Z_EN: 0
; COMPUTE_PGM_RSRC2:TIDIG_COMP_CNT: 0
	.text
	.p2alignl 7, 3214868480
	.fill 96, 4, 3214868480
	.type	__hip_cuid_943b0f47d2c16dc2,@object ; @__hip_cuid_943b0f47d2c16dc2
	.section	.bss,"aw",@nobits
	.globl	__hip_cuid_943b0f47d2c16dc2
__hip_cuid_943b0f47d2c16dc2:
	.byte	0                               ; 0x0
	.size	__hip_cuid_943b0f47d2c16dc2, 1

	.ident	"AMD clang version 19.0.0git (https://github.com/RadeonOpenCompute/llvm-project roc-6.4.0 25133 c7fe45cf4b819c5991fe208aaa96edf142730f1d)"
	.section	".note.GNU-stack","",@progbits
	.addrsig
	.addrsig_sym __hip_cuid_943b0f47d2c16dc2
	.amdgpu_metadata
---
amdhsa.kernels:
  - .args:
      - .actual_access:  read_only
        .address_space:  global
        .offset:         0
        .size:           8
        .value_kind:     global_buffer
      - .actual_access:  read_only
        .address_space:  global
        .offset:         8
        .size:           8
        .value_kind:     global_buffer
      - .actual_access:  read_only
        .address_space:  global
        .offset:         16
        .size:           8
        .value_kind:     global_buffer
      - .actual_access:  read_only
        .address_space:  global
        .offset:         24
        .size:           8
        .value_kind:     global_buffer
      - .actual_access:  read_only
        .address_space:  global
        .offset:         32
        .size:           8
        .value_kind:     global_buffer
      - .offset:         40
        .size:           8
        .value_kind:     by_value
      - .address_space:  global
        .offset:         48
        .size:           8
        .value_kind:     global_buffer
      - .address_space:  global
        .offset:         56
        .size:           8
        .value_kind:     global_buffer
      - .address_space:  global
        .offset:         64
        .size:           8
        .value_kind:     global_buffer
      - .address_space:  global
        .offset:         72
        .size:           8
        .value_kind:     global_buffer
      - .offset:         80
        .size:           4
        .value_kind:     by_value
      - .address_space:  global
        .offset:         88
        .size:           8
        .value_kind:     global_buffer
      - .address_space:  global
        .offset:         96
        .size:           8
        .value_kind:     global_buffer
    .group_segment_fixed_size: 28224
    .kernarg_segment_align: 8
    .kernarg_segment_size: 104
    .language:       OpenCL C
    .language_version:
      - 2
      - 0
    .max_flat_workgroup_size: 126
    .name:           bluestein_single_back_len1764_dim1_dp_op_CI_CI
    .private_segment_fixed_size: 392
    .sgpr_count:     34
    .sgpr_spill_count: 0
    .symbol:         bluestein_single_back_len1764_dim1_dp_op_CI_CI.kd
    .uniform_work_group_size: 1
    .uses_dynamic_stack: false
    .vgpr_count:     256
    .vgpr_spill_count: 97
    .wavefront_size: 32
    .workgroup_processor_mode: 1
amdhsa.target:   amdgcn-amd-amdhsa--gfx1100
amdhsa.version:
  - 1
  - 2
...

	.end_amdgpu_metadata
